;; amdgpu-corpus repo=ROCm/rocFFT kind=compiled arch=gfx1100 opt=O3
	.text
	.amdgcn_target "amdgcn-amd-amdhsa--gfx1100"
	.amdhsa_code_object_version 6
	.protected	bluestein_single_back_len1224_dim1_dp_op_CI_CI ; -- Begin function bluestein_single_back_len1224_dim1_dp_op_CI_CI
	.globl	bluestein_single_back_len1224_dim1_dp_op_CI_CI
	.p2align	8
	.type	bluestein_single_back_len1224_dim1_dp_op_CI_CI,@function
bluestein_single_back_len1224_dim1_dp_op_CI_CI: ; @bluestein_single_back_len1224_dim1_dp_op_CI_CI
; %bb.0:
	s_load_b128 s[4:7], s[0:1], 0x28
	v_mul_u32_u24_e32 v1, 0x283, v0
	v_mov_b32_e32 v250, 0
	s_mov_b32 s2, exec_lo
	s_delay_alu instid0(VALU_DEP_2) | instskip(NEXT) | instid1(VALU_DEP_1)
	v_lshrrev_b32_e32 v1, 16, v1
	v_lshl_add_u32 v249, s15, 1, v1
	s_waitcnt lgkmcnt(0)
	s_delay_alu instid0(VALU_DEP_1)
	v_cmpx_gt_u64_e64 s[4:5], v[249:250]
	s_cbranch_execz .LBB0_15
; %bb.1:
	v_mul_lo_u16 v2, 0x66, v1
	s_clause 0x1
	s_load_b64 s[12:13], s[0:1], 0x0
	s_load_b64 s[14:15], s[0:1], 0x38
	v_and_b32_e32 v1, 1, v1
	v_sub_nc_u16 v0, v0, v2
	s_delay_alu instid0(VALU_DEP_2) | instskip(NEXT) | instid1(VALU_DEP_2)
	v_cmp_eq_u32_e32 vcc_lo, 1, v1
	v_and_b32_e32 v250, 0xffff, v0
	v_cndmask_b32_e64 v44, 0, 0x4c8, vcc_lo
	v_cmp_gt_u16_e32 vcc_lo, 0x48, v0
	s_delay_alu instid0(VALU_DEP_3) | instskip(SKIP_1) | instid1(VALU_DEP_4)
	v_lshlrev_b32_e32 v248, 4, v250
	v_or_b32_e32 v247, 0x480, v250
	v_lshlrev_b32_e32 v0, 4, v44
	scratch_store_b32 off, v0, off          ; 4-byte Folded Spill
	s_and_saveexec_b32 s4, vcc_lo
	s_cbranch_execz .LBB0_3
; %bb.2:
	s_load_b64 s[2:3], s[0:1], 0x18
	s_waitcnt lgkmcnt(0)
	s_clause 0x1
	global_load_b128 v[0:3], v248, s[12:13] offset:1152
	global_load_b128 v[4:7], v248, s[12:13] offset:2304
	v_add_co_u32 v12, s5, s12, v248
	s_delay_alu instid0(VALU_DEP_1) | instskip(SKIP_3) | instid1(VALU_DEP_1)
	v_add_co_ci_u32_e64 v13, null, s13, 0, s5
	global_load_b128 v[8:11], v248, s[12:13] offset:3456
	s_load_b128 s[8:11], s[2:3], 0x0
	v_add_co_u32 v32, s2, 0x1000, v12
	v_add_co_ci_u32_e64 v33, s2, 0, v13, s2
	v_add_co_u32 v45, s2, 0x2000, v12
	s_delay_alu instid0(VALU_DEP_1) | instskip(SKIP_1) | instid1(VALU_DEP_1)
	v_add_co_ci_u32_e64 v46, s2, 0, v13, s2
	v_add_co_u32 v121, s2, 0x3000, v12
	v_add_co_ci_u32_e64 v122, s2, 0, v13, s2
	v_add_co_u32 v129, s2, 0x4000, v12
	s_delay_alu instid0(VALU_DEP_1)
	v_add_co_ci_u32_e64 v130, s2, 0, v13, s2
	s_waitcnt lgkmcnt(0)
	v_mad_u64_u32 v[57:58], null, s10, v249, 0
	v_mad_u64_u32 v[59:60], null, s8, v250, 0
	v_lshlrev_b32_e32 v16, 4, v247
	s_mul_i32 s2, s9, 0x480
	s_mul_hi_u32 s3, s8, 0x480
	s_mul_i32 s5, s8, 0x480
	s_delay_alu instid0(VALU_DEP_3) | instskip(SKIP_1) | instid1(VALU_DEP_3)
	v_mov_b32_e32 v47, v58
	s_add_i32 s3, s3, s2
	v_mov_b32_e32 v48, v60
	s_clause 0x7
	global_load_b128 v[12:15], v248, s[12:13]
	global_load_b128 v[16:19], v16, s[12:13]
	global_load_b128 v[20:23], v[32:33], off offset:512
	global_load_b128 v[24:27], v[32:33], off offset:1664
	;; [unrolled: 1-line block ×6, first 2 shown]
	v_mad_u64_u32 v[60:61], null, s11, v249, v[47:48]
	v_mad_u64_u32 v[61:62], null, s8, v247, 0
	v_mad_u64_u32 v[63:64], null, s9, v250, v[48:49]
	s_clause 0x2
	global_load_b128 v[45:48], v[45:46], off offset:3328
	global_load_b128 v[49:52], v[121:122], off offset:384
	;; [unrolled: 1-line block ×3, first 2 shown]
	v_mov_b32_e32 v58, v60
	v_mov_b32_e32 v60, v63
	s_delay_alu instid0(VALU_DEP_2) | instskip(SKIP_1) | instid1(VALU_DEP_3)
	v_lshlrev_b64 v[57:58], 4, v[57:58]
	v_mad_u64_u32 v[63:64], null, s9, v247, v[62:63]
	v_lshlrev_b64 v[59:60], 4, v[59:60]
	s_delay_alu instid0(VALU_DEP_3) | instskip(NEXT) | instid1(VALU_DEP_1)
	v_add_co_u32 v67, s2, s6, v57
	v_add_co_ci_u32_e64 v68, s2, s7, v58, s2
	s_delay_alu instid0(VALU_DEP_4) | instskip(NEXT) | instid1(VALU_DEP_3)
	v_mov_b32_e32 v62, v63
	v_add_co_u32 v63, s2, v67, v59
	s_delay_alu instid0(VALU_DEP_1) | instskip(NEXT) | instid1(VALU_DEP_3)
	v_add_co_ci_u32_e64 v64, s2, v68, v60, s2
	v_lshlrev_b64 v[57:58], 4, v[61:62]
	s_delay_alu instid0(VALU_DEP_3) | instskip(NEXT) | instid1(VALU_DEP_1)
	v_add_co_u32 v65, s2, v63, s5
	v_add_co_ci_u32_e64 v66, s2, s3, v64, s2
	s_delay_alu instid0(VALU_DEP_3) | instskip(NEXT) | instid1(VALU_DEP_1)
	v_add_co_u32 v57, s2, v67, v57
	v_add_co_ci_u32_e64 v58, s2, v68, v58, s2
	s_delay_alu instid0(VALU_DEP_4) | instskip(NEXT) | instid1(VALU_DEP_1)
	v_add_co_u32 v69, s2, v65, s5
	v_add_co_ci_u32_e64 v70, s2, s3, v66, s2
	global_load_b128 v[57:60], v[57:58], off
	v_add_co_u32 v73, s2, v69, s5
	s_delay_alu instid0(VALU_DEP_1) | instskip(SKIP_4) | instid1(VALU_DEP_1)
	v_add_co_ci_u32_e64 v74, s2, s3, v70, s2
	s_clause 0x1
	global_load_b128 v[61:64], v[63:64], off
	global_load_b128 v[65:68], v[65:66], off
	v_add_co_u32 v77, s2, v73, s5
	v_add_co_ci_u32_e64 v78, s2, s3, v74, s2
	s_clause 0x1
	global_load_b128 v[69:72], v[69:70], off
	global_load_b128 v[73:76], v[73:74], off
	v_add_co_u32 v81, s2, v77, s5
	s_delay_alu instid0(VALU_DEP_1) | instskip(SKIP_2) | instid1(VALU_DEP_1)
	v_add_co_ci_u32_e64 v82, s2, s3, v78, s2
	global_load_b128 v[77:80], v[77:78], off
	v_add_co_u32 v85, s2, v81, s5
	v_add_co_ci_u32_e64 v86, s2, s3, v82, s2
	global_load_b128 v[81:84], v[81:82], off
	v_add_co_u32 v89, s2, v85, s5
	s_delay_alu instid0(VALU_DEP_1) | instskip(SKIP_2) | instid1(VALU_DEP_1)
	v_add_co_ci_u32_e64 v90, s2, s3, v86, s2
	global_load_b128 v[85:88], v[85:86], off
	v_add_co_u32 v93, s2, v89, s5
	v_add_co_ci_u32_e64 v94, s2, s3, v90, s2
	global_load_b128 v[89:92], v[89:90], off
	v_add_co_u32 v97, s2, v93, s5
	s_delay_alu instid0(VALU_DEP_1) | instskip(SKIP_2) | instid1(VALU_DEP_1)
	v_add_co_ci_u32_e64 v98, s2, s3, v94, s2
	global_load_b128 v[93:96], v[93:94], off
	v_add_co_u32 v101, s2, v97, s5
	v_add_co_ci_u32_e64 v102, s2, s3, v98, s2
	global_load_b128 v[97:100], v[97:98], off
	v_add_co_u32 v105, s2, v101, s5
	s_delay_alu instid0(VALU_DEP_1) | instskip(SKIP_2) | instid1(VALU_DEP_1)
	v_add_co_ci_u32_e64 v106, s2, s3, v102, s2
	global_load_b128 v[101:104], v[101:102], off
	v_add_co_u32 v109, s2, v105, s5
	v_add_co_ci_u32_e64 v110, s2, s3, v106, s2
	global_load_b128 v[105:108], v[105:106], off
	v_add_co_u32 v113, s2, v109, s5
	s_delay_alu instid0(VALU_DEP_1) | instskip(SKIP_2) | instid1(VALU_DEP_1)
	v_add_co_ci_u32_e64 v114, s2, s3, v110, s2
	global_load_b128 v[109:112], v[109:110], off
	v_add_co_u32 v125, s2, v113, s5
	v_add_co_ci_u32_e64 v126, s2, s3, v114, s2
	global_load_b128 v[113:116], v[113:114], off
	v_add_co_u32 v133, s2, v125, s5
	s_delay_alu instid0(VALU_DEP_1)
	v_add_co_ci_u32_e64 v134, s2, s3, v126, s2
	s_clause 0x1
	global_load_b128 v[117:120], v[121:122], off offset:2688
	global_load_b128 v[121:124], v[121:122], off offset:3840
	global_load_b128 v[125:128], v[125:126], off
	global_load_b128 v[129:132], v[129:130], off offset:896
	global_load_b128 v[133:136], v[133:134], off
	s_waitcnt vmcnt(19)
	v_mul_f64 v[139:140], v[59:60], v[18:19]
	v_mul_f64 v[177:178], v[57:58], v[18:19]
	s_waitcnt vmcnt(18)
	v_mul_f64 v[137:138], v[63:64], v[14:15]
	v_mul_f64 v[14:15], v[61:62], v[14:15]
	;; [unrolled: 3-line block ×10, first 2 shown]
	v_fma_f64 v[2:3], v[57:58], v[16:17], v[139:140]
	s_waitcnt vmcnt(9)
	v_mul_f64 v[161:162], v[99:100], v[42:43]
	v_mul_f64 v[42:43], v[97:98], v[42:43]
	v_fma_f64 v[10:11], v[61:62], v[12:13], v[137:138]
	v_fma_f64 v[12:13], v[63:64], v[12:13], -v[14:15]
	s_waitcnt vmcnt(8)
	v_mul_f64 v[163:164], v[103:104], v[47:48]
	v_mul_f64 v[47:48], v[101:102], v[47:48]
	v_fma_f64 v[57:58], v[67:68], v[0:1], -v[143:144]
	v_fma_f64 v[61:62], v[69:70], v[4:5], v[145:146]
	v_fma_f64 v[63:64], v[71:72], v[4:5], -v[6:7]
	s_waitcnt vmcnt(7)
	v_mul_f64 v[165:166], v[107:108], v[51:52]
	v_mul_f64 v[51:52], v[105:106], v[51:52]
	v_fma_f64 v[6:7], v[73:74], v[8:9], v[147:148]
	v_fma_f64 v[8:9], v[75:76], v[8:9], -v[149:150]
	v_fma_f64 v[18:19], v[77:78], v[20:21], v[151:152]
	s_waitcnt vmcnt(6)
	v_mul_f64 v[167:168], v[111:112], v[55:56]
	v_mul_f64 v[169:170], v[109:110], v[55:56]
	v_fma_f64 v[55:56], v[65:66], v[0:1], v[141:142]
	v_fma_f64 v[20:21], v[79:80], v[20:21], -v[22:23]
	v_fma_f64 v[22:23], v[81:82], v[24:25], v[153:154]
	v_fma_f64 v[24:25], v[83:84], v[24:25], -v[26:27]
	s_waitcnt vmcnt(4)
	v_mul_f64 v[171:172], v[115:116], v[119:120]
	v_mul_f64 v[119:120], v[113:114], v[119:120]
	s_waitcnt vmcnt(2)
	v_mul_f64 v[173:174], v[127:128], v[123:124]
	v_mul_f64 v[123:124], v[125:126], v[123:124]
	;; [unrolled: 3-line block ×3, first 2 shown]
	v_fma_f64 v[26:27], v[85:86], v[28:29], v[155:156]
	v_fma_f64 v[28:29], v[87:88], v[28:29], -v[30:31]
	v_fma_f64 v[30:31], v[89:90], v[32:33], v[157:158]
	v_fma_f64 v[32:33], v[91:92], v[32:33], -v[34:35]
	v_fma_f64 v[4:5], v[59:60], v[16:17], -v[177:178]
	v_lshlrev_b32_e32 v1, 4, v44
	v_fma_f64 v[34:35], v[93:94], v[36:37], v[159:160]
	v_fma_f64 v[36:37], v[95:96], v[36:37], -v[38:39]
	s_delay_alu instid0(VALU_DEP_3)
	v_lshl_add_u32 v0, v250, 4, v1
	v_add_nc_u32_e32 v1, v1, v248
	v_fma_f64 v[38:39], v[97:98], v[40:41], v[161:162]
	v_fma_f64 v[40:41], v[99:100], v[40:41], -v[42:43]
	v_fma_f64 v[65:66], v[101:102], v[45:46], v[163:164]
	v_fma_f64 v[67:68], v[103:104], v[45:46], -v[47:48]
	v_fma_f64 v[45:46], v[105:106], v[49:50], v[165:166]
	v_fma_f64 v[47:48], v[107:108], v[49:50], -v[51:52]
	v_fma_f64 v[49:50], v[109:110], v[53:54], v[167:168]
	v_fma_f64 v[51:52], v[111:112], v[53:54], -v[169:170]
	v_fma_f64 v[69:70], v[113:114], v[117:118], v[171:172]
	v_fma_f64 v[71:72], v[115:116], v[117:118], -v[119:120]
	v_fma_f64 v[73:74], v[125:126], v[121:122], v[173:174]
	v_fma_f64 v[75:76], v[127:128], v[121:122], -v[123:124]
	v_fma_f64 v[77:78], v[133:134], v[129:130], v[175:176]
	v_fma_f64 v[79:80], v[135:136], v[129:130], -v[131:132]
	ds_store_b128 v0, v[10:13]
	ds_store_b128 v1, v[55:58] offset:1152
	ds_store_b128 v1, v[61:64] offset:2304
	;; [unrolled: 1-line block ×16, first 2 shown]
.LBB0_3:
	s_or_b32 exec_lo, exec_lo, s4
	s_clause 0x1
	s_load_b64 s[4:5], s[0:1], 0x20
	s_load_b64 s[2:3], s[0:1], 0x8
	s_waitcnt lgkmcnt(0)
	s_waitcnt_vscnt null, 0x0
	s_barrier
	buffer_gl0_inv
                                        ; implicit-def: $vgpr12_vgpr13
                                        ; implicit-def: $vgpr28_vgpr29
                                        ; implicit-def: $vgpr32_vgpr33
                                        ; implicit-def: $vgpr48_vgpr49
                                        ; implicit-def: $vgpr64_vgpr65
                                        ; implicit-def: $vgpr72_vgpr73
                                        ; implicit-def: $vgpr80_vgpr81
                                        ; implicit-def: $vgpr52_vgpr53
                                        ; implicit-def: $vgpr24_vgpr25
                                        ; implicit-def: $vgpr20_vgpr21
                                        ; implicit-def: $vgpr16_vgpr17
                                        ; implicit-def: $vgpr76_vgpr77
                                        ; implicit-def: $vgpr68_vgpr69
                                        ; implicit-def: $vgpr60_vgpr61
                                        ; implicit-def: $vgpr56_vgpr57
                                        ; implicit-def: $vgpr40_vgpr41
                                        ; implicit-def: $vgpr36_vgpr37
	s_and_saveexec_b32 s0, vcc_lo
	s_cbranch_execz .LBB0_5
; %bb.4:
	v_lshl_add_u32 v0, v44, 4, v248
	ds_load_b128 v[12:15], v0
	ds_load_b128 v[36:39], v0 offset:1152
	ds_load_b128 v[40:43], v0 offset:2304
	;; [unrolled: 1-line block ×16, first 2 shown]
.LBB0_5:
	s_or_b32 exec_lo, exec_lo, s0
	s_waitcnt lgkmcnt(0)
	v_add_f64 v[168:169], v[38:39], -v[18:19]
	v_add_f64 v[102:103], v[42:43], -v[22:23]
	s_mov_b32 s0, 0x5d8e7cdc
	s_mov_b32 s10, 0x2a9d6da3
	;; [unrolled: 1-line block ×4, first 2 shown]
	v_add_f64 v[164:165], v[16:17], v[36:37]
	v_add_f64 v[100:101], v[40:41], -v[20:21]
	s_mov_b32 s6, 0x370991
	s_mov_b32 s7, 0x3fedd6d0
	v_add_f64 v[84:85], v[20:21], v[40:41]
	s_mov_b32 s8, 0x75d4884
	s_mov_b32 s9, 0x3fe7a5f6
	v_add_f64 v[182:183], v[36:37], -v[16:17]
	v_add_f64 v[178:179], v[18:19], v[38:39]
	v_add_f64 v[96:97], v[22:23], v[42:43]
	v_add_f64 v[114:115], v[30:31], -v[26:27]
	s_mov_b32 s18, 0x7c9e640b
	s_mov_b32 s19, 0xbfeca52d
	v_add_f64 v[88:89], v[28:29], v[24:25]
	s_mov_b32 s16, 0x2b2883cd
	s_mov_b32 s17, 0x3fdc86fa
	v_add_f64 v[112:113], v[28:29], -v[24:25]
	v_add_f64 v[108:109], v[30:31], v[26:27]
	v_add_f64 v[124:125], v[34:35], -v[54:55]
	s_mov_b32 s22, 0xeb564b22
	s_mov_b32 s23, 0xbfefdd0d
	v_add_f64 v[104:105], v[32:33], v[52:53]
	s_mov_b32 s20, 0x3259b75e
	s_mov_b32 s21, 0x3fb79ee6
	v_add_f64 v[126:127], v[32:33], -v[52:53]
	v_add_f64 v[120:121], v[34:35], v[54:55]
	v_add_f64 v[136:137], v[58:59], -v[82:83]
	s_mov_b32 s26, 0x923c349f
	s_mov_b32 s27, 0xbfeec746
	v_add_f64 v[116:117], v[80:81], v[56:57]
	s_mov_b32 s24, 0xc61f0d01
	s_mov_b32 s25, 0xbfd183b1
	v_mul_f64 v[0:1], v[168:169], s[0:1]
	v_mul_f64 v[2:3], v[102:103], s[10:11]
	v_add_f64 v[142:143], v[56:57], -v[80:81]
	v_add_f64 v[132:133], v[82:83], v[58:59]
	v_add_f64 v[162:163], v[62:63], -v[74:75]
	s_mov_b32 s52, 0x6c9a05f6
	s_mov_b32 s53, 0xbfe9895b
	v_mul_f64 v[4:5], v[100:101], s[10:11]
	v_add_f64 v[128:129], v[72:73], v[60:61]
	s_mov_b32 s28, 0x6ed5f1bb
	s_mov_b32 s29, 0xbfe348c8
	v_add_f64 v[156:157], v[60:61], -v[72:73]
	v_add_f64 v[144:145], v[74:75], v[62:63]
	v_add_f64 v[172:173], v[50:51], -v[78:79]
	s_mov_b32 s36, 0x4363dd80
	s_mov_b32 s37, 0x3fe0d888
	;; [unrolled: 1-line block ×4, first 2 shown]
	v_add_f64 v[138:139], v[48:49], v[76:77]
	s_mov_b32 s30, 0x910ea3b9
	s_mov_b32 s31, 0xbfeb34fa
	v_add_f64 v[170:171], v[48:49], -v[76:77]
	v_add_f64 v[152:153], v[50:51], v[78:79]
	v_add_f64 v[176:177], v[66:67], -v[70:71]
	s_mov_b32 s38, 0xacd6c6b4
	s_mov_b32 s39, 0xbfc7851a
	v_add_f64 v[148:149], v[64:65], v[68:69]
	s_mov_b32 s34, 0x7faef3
	s_mov_b32 s35, 0xbfef7484
	v_add_f64 v[174:175], v[64:65], -v[68:69]
	v_add_f64 v[158:159], v[66:67], v[70:71]
	v_mul_f64 v[194:195], v[168:169], s[10:11]
	v_mul_f64 v[196:197], v[182:183], s[10:11]
	s_mov_b32 s51, 0x3feec746
	s_mov_b32 s50, s26
	;; [unrolled: 1-line block ×6, first 2 shown]
	s_clause 0x1
	scratch_store_b64 off, v[2:3], off offset:52
	scratch_store_b64 off, v[0:1], off offset:276
	v_fma_f64 v[0:1], v[164:165], s[6:7], v[0:1]
	v_fma_f64 v[2:3], v[84:85], s[8:9], v[2:3]
	v_mul_f64 v[211:212], v[142:143], s[36:37]
	v_mul_f64 v[198:199], v[168:169], s[18:19]
	scratch_store_b64 off, v[4:5], off offset:84 ; 8-byte Folded Spill
	v_fma_f64 v[4:5], v[96:97], s[8:9], -v[4:5]
	v_mul_f64 v[200:201], v[182:183], s[18:19]
	v_mul_f64 v[215:216], v[100:101], s[52:53]
	;; [unrolled: 1-line block ×3, first 2 shown]
	s_mov_b32 s47, 0x3fc7851a
	s_mov_b32 s46, s38
	v_mul_f64 v[239:240], v[126:127], s[50:51]
	v_mul_f64 v[223:224], v[112:113], s[46:47]
	s_mov_b32 s49, 0x3fe58eea
	s_mov_b32 s48, s10
	v_mul_f64 v[90:91], v[162:163], s[0:1]
	v_mul_f64 v[235:236], v[136:137], s[48:49]
	;; [unrolled: 1-line block ×20, first 2 shown]
	s_mov_b32 s55, 0x3fe9895b
	s_mov_b32 s54, s52
	v_mul_f64 v[245:246], v[176:177], s[48:49]
	v_add_f64 v[0:1], v[12:13], v[0:1]
	v_mul_f64 v[86:87], v[172:173], s[54:55]
	v_mul_f64 v[122:123], v[170:171], s[54:55]
	;; [unrolled: 1-line block ×11, first 2 shown]
	s_mov_b32 s57, 0x3fefdd0d
	s_mov_b32 s56, s22
	v_mul_f64 v[140:141], v[172:173], s[0:1]
	v_mul_f64 v[186:187], v[162:163], s[56:57]
	;; [unrolled: 1-line block ×6, first 2 shown]
	v_add_f64 v[0:1], v[2:3], v[0:1]
	v_mul_f64 v[2:3], v[182:183], s[0:1]
	scratch_store_b64 off, v[2:3], off offset:292 ; 8-byte Folded Spill
	v_fma_f64 v[2:3], v[178:179], s[6:7], -v[2:3]
	s_delay_alu instid0(VALU_DEP_1) | instskip(NEXT) | instid1(VALU_DEP_1)
	v_add_f64 v[2:3], v[14:15], v[2:3]
	v_add_f64 v[2:3], v[4:5], v[2:3]
	v_mul_f64 v[4:5], v[114:115], s[18:19]
	scratch_store_b64 off, v[4:5], off offset:68 ; 8-byte Folded Spill
	v_fma_f64 v[4:5], v[88:89], s[16:17], v[4:5]
	s_delay_alu instid0(VALU_DEP_1) | instskip(SKIP_3) | instid1(VALU_DEP_1)
	v_add_f64 v[0:1], v[4:5], v[0:1]
	v_mul_f64 v[4:5], v[112:113], s[18:19]
	scratch_store_b64 off, v[4:5], off offset:116 ; 8-byte Folded Spill
	v_fma_f64 v[4:5], v[108:109], s[16:17], -v[4:5]
	v_add_f64 v[2:3], v[4:5], v[2:3]
	v_mul_f64 v[4:5], v[124:125], s[22:23]
	scratch_store_b64 off, v[4:5], off offset:100 ; 8-byte Folded Spill
	v_fma_f64 v[4:5], v[104:105], s[20:21], v[4:5]
	s_delay_alu instid0(VALU_DEP_1) | instskip(SKIP_3) | instid1(VALU_DEP_1)
	v_add_f64 v[0:1], v[4:5], v[0:1]
	v_mul_f64 v[4:5], v[126:127], s[22:23]
	scratch_store_b64 off, v[4:5], off offset:148 ; 8-byte Folded Spill
	v_fma_f64 v[4:5], v[120:121], s[20:21], -v[4:5]
	;; [unrolled: 9-line block ×5, first 2 shown]
	v_add_f64 v[2:3], v[4:5], v[2:3]
	v_mul_f64 v[4:5], v[176:177], s[38:39]
	scratch_store_b64 off, v[4:5], off offset:228 ; 8-byte Folded Spill
	v_fma_f64 v[4:5], v[148:149], s[34:35], v[4:5]
	s_delay_alu instid0(VALU_DEP_1)
	v_add_f64 v[92:93], v[4:5], v[0:1]
	v_mul_f64 v[0:1], v[174:175], s[38:39]
	v_mul_f64 v[4:5], v[100:101], s[22:23]
	s_clause 0x1
	scratch_store_b64 off, v[0:1], off offset:260
	scratch_store_b64 off, v[4:5], off offset:356
	v_fma_f64 v[0:1], v[158:159], s[34:35], -v[0:1]
	v_fma_f64 v[4:5], v[96:97], s[20:21], -v[4:5]
	s_delay_alu instid0(VALU_DEP_2) | instskip(SKIP_2) | instid1(VALU_DEP_2)
	v_add_f64 v[94:95], v[0:1], v[2:3]
	v_fma_f64 v[0:1], v[164:165], s[8:9], v[194:195]
	v_mul_f64 v[2:3], v[102:103], s[22:23]
	v_add_f64 v[0:1], v[12:13], v[0:1]
	scratch_store_b64 off, v[2:3], off offset:308 ; 8-byte Folded Spill
	v_fma_f64 v[2:3], v[84:85], s[20:21], v[2:3]
	s_delay_alu instid0(VALU_DEP_1) | instskip(SKIP_1) | instid1(VALU_DEP_1)
	v_add_f64 v[0:1], v[2:3], v[0:1]
	v_fma_f64 v[2:3], v[178:179], s[8:9], -v[196:197]
	v_add_f64 v[2:3], v[14:15], v[2:3]
	s_delay_alu instid0(VALU_DEP_1) | instskip(SKIP_3) | instid1(VALU_DEP_1)
	v_add_f64 v[2:3], v[4:5], v[2:3]
	v_mul_f64 v[4:5], v[114:115], s[52:53]
	scratch_store_b64 off, v[4:5], off offset:324 ; 8-byte Folded Spill
	v_fma_f64 v[4:5], v[88:89], s[28:29], v[4:5]
	v_add_f64 v[0:1], v[4:5], v[0:1]
	v_mul_f64 v[4:5], v[112:113], s[52:53]
	scratch_store_b64 off, v[4:5], off offset:372 ; 8-byte Folded Spill
	v_fma_f64 v[4:5], v[108:109], s[28:29], -v[4:5]
	s_delay_alu instid0(VALU_DEP_1) | instskip(SKIP_3) | instid1(VALU_DEP_1)
	v_add_f64 v[2:3], v[4:5], v[2:3]
	v_mul_f64 v[4:5], v[124:125], s[38:39]
	scratch_store_b64 off, v[4:5], off offset:340 ; 8-byte Folded Spill
	v_fma_f64 v[4:5], v[104:105], s[34:35], v[4:5]
	v_add_f64 v[0:1], v[4:5], v[0:1]
	v_mul_f64 v[4:5], v[126:127], s[38:39]
	scratch_store_b64 off, v[4:5], off offset:404 ; 8-byte Folded Spill
	v_fma_f64 v[4:5], v[120:121], s[34:35], -v[4:5]
	s_delay_alu instid0(VALU_DEP_1) | instskip(SKIP_3) | instid1(VALU_DEP_1)
	v_add_f64 v[2:3], v[4:5], v[2:3]
	v_mul_f64 v[4:5], v[136:137], s[36:37]
	scratch_store_b64 off, v[4:5], off offset:380 ; 8-byte Folded Spill
	v_fma_f64 v[4:5], v[116:117], s[30:31], v[4:5]
	v_add_f64 v[0:1], v[4:5], v[0:1]
	v_fma_f64 v[4:5], v[132:133], s[30:31], -v[211:212]
	s_delay_alu instid0(VALU_DEP_1) | instskip(SKIP_3) | instid1(VALU_DEP_1)
	v_add_f64 v[2:3], v[4:5], v[2:3]
	v_mul_f64 v[4:5], v[162:163], s[50:51]
	scratch_store_b64 off, v[4:5], off offset:420 ; 8-byte Folded Spill
	v_fma_f64 v[4:5], v[128:129], s[24:25], v[4:5]
	v_add_f64 v[0:1], v[4:5], v[0:1]
	;; [unrolled: 7-line block ×4, first 2 shown]
	v_fma_f64 v[0:1], v[158:159], s[6:7], -v[219:220]
	s_delay_alu instid0(VALU_DEP_1)
	v_add_f64 v[6:7], v[0:1], v[2:3]
	v_fma_f64 v[0:1], v[164:165], s[16:17], v[198:199]
	v_mul_f64 v[2:3], v[102:103], s[52:53]
	scratch_store_b128 off, v[4:7], off offset:4 ; 16-byte Folded Spill
	v_add_f64 v[0:1], v[12:13], v[0:1]
	scratch_store_b64 off, v[2:3], off offset:396 ; 8-byte Folded Spill
	v_fma_f64 v[2:3], v[84:85], s[28:29], v[2:3]
	v_fma_f64 v[4:5], v[96:97], s[28:29], -v[215:216]
	v_mul_f64 v[6:7], v[174:175], s[40:41]
	s_delay_alu instid0(VALU_DEP_3) | instskip(SKIP_1) | instid1(VALU_DEP_1)
	v_add_f64 v[0:1], v[2:3], v[0:1]
	v_fma_f64 v[2:3], v[178:179], s[16:17], -v[200:201]
	v_add_f64 v[2:3], v[14:15], v[2:3]
	s_delay_alu instid0(VALU_DEP_1) | instskip(SKIP_3) | instid1(VALU_DEP_1)
	v_add_f64 v[2:3], v[4:5], v[2:3]
	v_mul_f64 v[4:5], v[114:115], s[46:47]
	scratch_store_b64 off, v[4:5], off offset:436 ; 8-byte Folded Spill
	v_fma_f64 v[4:5], v[88:89], s[34:35], v[4:5]
	v_add_f64 v[0:1], v[4:5], v[0:1]
	v_fma_f64 v[4:5], v[108:109], s[34:35], -v[223:224]
	s_delay_alu instid0(VALU_DEP_1) | instskip(SKIP_3) | instid1(VALU_DEP_1)
	v_add_f64 v[2:3], v[4:5], v[2:3]
	v_mul_f64 v[4:5], v[124:125], s[50:51]
	scratch_store_b64 off, v[4:5], off offset:444 ; 8-byte Folded Spill
	v_fma_f64 v[4:5], v[104:105], s[24:25], v[4:5]
	v_add_f64 v[0:1], v[4:5], v[0:1]
	v_fma_f64 v[4:5], v[120:121], s[24:25], -v[239:240]
	s_delay_alu instid0(VALU_DEP_1) | instskip(SKIP_1) | instid1(VALU_DEP_1)
	v_add_f64 v[2:3], v[4:5], v[2:3]
	v_fma_f64 v[4:5], v[116:117], s[8:9], v[235:236]
	v_add_f64 v[0:1], v[4:5], v[0:1]
	v_fma_f64 v[4:5], v[132:133], s[8:9], -v[106:107]
	s_delay_alu instid0(VALU_DEP_1) | instskip(SKIP_1) | instid1(VALU_DEP_1)
	v_add_f64 v[2:3], v[4:5], v[2:3]
	;; [unrolled: 5-line block ×4, first 2 shown]
	v_fma_f64 v[4:5], v[148:149], s[30:31], v[231:232]
	v_add_f64 v[8:9], v[4:5], v[0:1]
	v_fma_f64 v[0:1], v[158:159], s[30:31], -v[6:7]
	v_fma_f64 v[4:5], v[96:97], s[34:35], -v[233:234]
	s_delay_alu instid0(VALU_DEP_2) | instskip(SKIP_4) | instid1(VALU_DEP_1)
	v_add_f64 v[10:11], v[0:1], v[2:3]
	v_fma_f64 v[0:1], v[164:165], s[20:21], v[202:203]
	v_fma_f64 v[2:3], v[84:85], s[34:35], v[217:218]
	scratch_store_b128 off, v[8:11], off offset:20 ; 16-byte Folded Spill
	v_add_f64 v[0:1], v[12:13], v[0:1]
	v_add_f64 v[0:1], v[2:3], v[0:1]
	v_fma_f64 v[2:3], v[178:179], s[20:21], -v[204:205]
	s_delay_alu instid0(VALU_DEP_1) | instskip(NEXT) | instid1(VALU_DEP_1)
	v_add_f64 v[2:3], v[14:15], v[2:3]
	v_add_f64 v[2:3], v[4:5], v[2:3]
	v_fma_f64 v[4:5], v[88:89], s[24:25], v[225:226]
	s_delay_alu instid0(VALU_DEP_1) | instskip(SKIP_1) | instid1(VALU_DEP_1)
	v_add_f64 v[4:5], v[4:5], v[0:1]
	v_mul_f64 v[0:1], v[112:113], s[50:51]
	v_fma_f64 v[8:9], v[108:109], s[24:25], -v[0:1]
	s_delay_alu instid0(VALU_DEP_1) | instskip(SKIP_1) | instid1(VALU_DEP_1)
	v_add_f64 v[2:3], v[8:9], v[2:3]
	v_fma_f64 v[8:9], v[104:105], s[6:7], v[229:230]
	v_add_f64 v[4:5], v[8:9], v[4:5]
	v_fma_f64 v[8:9], v[120:121], s[6:7], -v[118:119]
	s_delay_alu instid0(VALU_DEP_1) | instskip(SKIP_1) | instid1(VALU_DEP_1)
	v_add_f64 v[2:3], v[8:9], v[2:3]
	v_fma_f64 v[8:9], v[116:117], s[16:17], v[98:99]
	v_add_f64 v[4:5], v[8:9], v[4:5]
	;; [unrolled: 5-line block ×5, first 2 shown]
	v_fma_f64 v[4:5], v[158:159], s[8:9], -v[110:111]
	s_delay_alu instid0(VALU_DEP_1)
	v_add_f64 v[10:11], v[4:5], v[2:3]
	v_fma_f64 v[2:3], v[164:165], s[24:25], v[206:207]
	v_fma_f64 v[4:5], v[84:85], s[30:31], v[227:228]
	scratch_store_b128 off, v[8:11], off offset:36 ; 16-byte Folded Spill
	v_add_f64 v[2:3], v[12:13], v[2:3]
	s_waitcnt_vscnt null, 0x0
	s_barrier
	buffer_gl0_inv
	v_add_f64 v[4:5], v[4:5], v[2:3]
	v_fma_f64 v[2:3], v[178:179], s[24:25], -v[208:209]
	s_delay_alu instid0(VALU_DEP_1) | instskip(SKIP_1) | instid1(VALU_DEP_1)
	v_add_f64 v[8:9], v[14:15], v[2:3]
	v_mul_f64 v[2:3], v[100:101], s[36:37]
	v_fma_f64 v[10:11], v[96:97], s[30:31], -v[2:3]
	s_delay_alu instid0(VALU_DEP_1) | instskip(SKIP_1) | instid1(VALU_DEP_1)
	v_add_f64 v[8:9], v[10:11], v[8:9]
	v_fma_f64 v[10:11], v[88:89], s[8:9], v[241:242]
	v_add_f64 v[10:11], v[10:11], v[4:5]
	v_fma_f64 v[4:5], v[108:109], s[8:9], -v[134:135]
	s_delay_alu instid0(VALU_DEP_1) | instskip(SKIP_1) | instid1(VALU_DEP_1)
	v_add_f64 v[8:9], v[4:5], v[8:9]
	v_mul_f64 v[4:5], v[124:125], s[18:19]
	v_fma_f64 v[45:46], v[104:105], s[16:17], v[4:5]
	s_delay_alu instid0(VALU_DEP_1) | instskip(SKIP_1) | instid1(VALU_DEP_1)
	v_add_f64 v[10:11], v[45:46], v[10:11]
	v_fma_f64 v[45:46], v[120:121], s[16:17], -v[180:181]
	v_add_f64 v[8:9], v[45:46], v[8:9]
	v_fma_f64 v[45:46], v[116:117], s[34:35], v[150:151]
	s_delay_alu instid0(VALU_DEP_1) | instskip(SKIP_1) | instid1(VALU_DEP_1)
	v_add_f64 v[10:11], v[45:46], v[10:11]
	v_fma_f64 v[45:46], v[132:133], s[34:35], -v[190:191]
	v_add_f64 v[8:9], v[45:46], v[8:9]
	;; [unrolled: 5-line block ×5, first 2 shown]
	s_and_saveexec_b32 s33, vcc_lo
	s_cbranch_execz .LBB0_7
; %bb.6:
	v_add_f64 v[10:11], v[12:13], v[36:37]
	v_add_f64 v[8:9], v[14:15], v[38:39]
	v_mul_f64 v[45:46], v[178:179], s[6:7]
	v_mul_f64 v[38:39], v[164:165], s[16:17]
	v_mul_f64 v[36:37], v[178:179], s[16:17]
	v_add_f64 v[10:11], v[40:41], v[10:11]
	v_add_f64 v[8:9], v[42:43], v[8:9]
	v_mul_f64 v[42:43], v[164:165], s[8:9]
	v_add_f64 v[38:39], v[38:39], -v[198:199]
	v_mul_f64 v[40:41], v[178:179], s[8:9]
	v_add_f64 v[36:37], v[200:201], v[36:37]
	scratch_load_b64 v[200:201], off, off offset:420 ; 8-byte Folded Reload
	v_add_f64 v[10:11], v[28:29], v[10:11]
	v_add_f64 v[8:9], v[30:31], v[8:9]
	v_mul_f64 v[30:31], v[164:165], s[24:25]
	v_add_f64 v[42:43], v[42:43], -v[194:195]
	v_mul_f64 v[28:29], v[178:179], s[24:25]
	v_add_f64 v[40:41], v[196:197], v[40:41]
	s_clause 0x1
	scratch_load_b64 v[194:195], off, off offset:404
	scratch_load_b64 v[196:197], off, off offset:372
	v_add_f64 v[10:11], v[32:33], v[10:11]
	v_add_f64 v[8:9], v[34:35], v[8:9]
	v_mul_f64 v[32:33], v[178:179], s[20:21]
	v_add_f64 v[30:31], v[30:31], -v[206:207]
	v_mul_f64 v[34:35], v[164:165], s[20:21]
	v_add_f64 v[28:29], v[208:209], v[28:29]
	scratch_load_b64 v[206:207], off, off offset:324 ; 8-byte Folded Reload
	v_add_f64 v[10:11], v[56:57], v[10:11]
	v_add_f64 v[8:9], v[58:59], v[8:9]
	;; [unrolled: 1-line block ×3, first 2 shown]
	scratch_load_b64 v[204:205], off, off offset:308 ; 8-byte Folded Reload
	v_add_f64 v[34:35], v[34:35], -v[202:203]
	s_clause 0x1
	scratch_load_b64 v[202:203], off, off offset:380
	scratch_load_b64 v[198:199], off, off offset:356
	v_add_f64 v[10:11], v[60:61], v[10:11]
	v_add_f64 v[8:9], v[62:63], v[8:9]
	scratch_load_b64 v[61:62], off, off offset:276 ; 8-byte Folded Reload
	v_mul_f64 v[59:60], v[164:165], s[6:7]
	v_add_f64 v[34:35], v[12:13], v[34:35]
	v_add_f64 v[32:33], v[14:15], v[32:33]
	;; [unrolled: 1-line block ×3, first 2 shown]
	scratch_load_b64 v[47:48], off, off offset:292 ; 8-byte Folded Reload
	v_add_f64 v[8:9], v[50:51], v[8:9]
	v_mul_f64 v[49:50], v[168:169], s[40:41]
	v_add_f64 v[10:11], v[64:65], v[10:11]
	s_delay_alu instid0(VALU_DEP_3) | instskip(NEXT) | instid1(VALU_DEP_2)
	v_add_f64 v[8:9], v[66:67], v[8:9]
	v_add_f64 v[10:11], v[68:69], v[10:11]
	s_delay_alu instid0(VALU_DEP_2) | instskip(SKIP_2) | instid1(VALU_DEP_4)
	v_add_f64 v[8:9], v[70:71], v[8:9]
	v_add_f64 v[69:70], v[14:15], v[28:29]
	;; [unrolled: 1-line block ×4, first 2 shown]
	s_delay_alu instid0(VALU_DEP_4) | instskip(NEXT) | instid1(VALU_DEP_2)
	v_add_f64 v[8:9], v[78:79], v[8:9]
	v_add_f64 v[10:11], v[72:73], v[10:11]
	;; [unrolled: 1-line block ×3, first 2 shown]
	s_delay_alu instid0(VALU_DEP_3) | instskip(SKIP_1) | instid1(VALU_DEP_4)
	v_add_f64 v[8:9], v[74:75], v[8:9]
	v_add_f64 v[30:31], v[12:13], v[38:39]
	;; [unrolled: 1-line block ×3, first 2 shown]
	s_delay_alu instid0(VALU_DEP_3) | instskip(NEXT) | instid1(VALU_DEP_2)
	v_add_f64 v[8:9], v[82:83], v[8:9]
	v_add_f64 v[10:11], v[52:53], v[10:11]
	v_mul_f64 v[51:52], v[168:169], s[52:53]
	s_delay_alu instid0(VALU_DEP_3)
	v_add_f64 v[8:9], v[54:55], v[8:9]
	v_fma_f64 v[55:56], v[164:165], s[30:31], v[49:50]
	v_fma_f64 v[49:50], v[164:165], s[30:31], -v[49:50]
	v_add_f64 v[10:11], v[24:25], v[10:11]
	v_mul_f64 v[24:25], v[178:179], s[28:29]
	v_add_f64 v[8:9], v[26:27], v[8:9]
	v_fma_f64 v[57:58], v[164:165], s[28:29], v[51:52]
	v_fma_f64 v[51:52], v[164:165], s[28:29], -v[51:52]
	v_add_f64 v[55:56], v[12:13], v[55:56]
	v_add_f64 v[49:50], v[12:13], v[49:50]
	s_waitcnt vmcnt(1)
	v_add_f64 v[59:60], v[59:60], -v[61:62]
	v_add_f64 v[10:11], v[20:21], v[10:11]
	v_mul_f64 v[20:21], v[178:179], s[30:31]
	v_add_f64 v[8:9], v[22:23], v[8:9]
	v_fma_f64 v[26:27], v[182:183], s[54:55], v[24:25]
	v_add_f64 v[57:58], v[12:13], v[57:58]
	v_add_f64 v[51:52], v[12:13], v[51:52]
	v_fma_f64 v[24:25], v[182:183], s[52:53], v[24:25]
	s_waitcnt vmcnt(0)
	v_add_f64 v[45:46], v[47:48], v[45:46]
	v_mul_f64 v[47:48], v[168:169], s[38:39]
	v_mul_f64 v[168:169], v[176:177], s[56:57]
	v_add_f64 v[59:60], v[12:13], v[59:60]
	v_add_f64 v[16:17], v[16:17], v[10:11]
	v_fma_f64 v[22:23], v[182:183], s[36:37], v[20:21]
	v_add_f64 v[18:19], v[18:19], v[8:9]
	v_mul_f64 v[8:9], v[178:179], s[34:35]
	v_fma_f64 v[20:21], v[182:183], s[40:41], v[20:21]
	v_add_f64 v[65:66], v[14:15], v[26:27]
	v_add_f64 v[26:27], v[12:13], v[42:43]
	;; [unrolled: 1-line block ×4, first 2 shown]
	v_mul_f64 v[178:179], v[132:133], s[30:31]
	v_add_f64 v[45:46], v[14:15], v[45:46]
	v_fma_f64 v[53:54], v[164:165], s[34:35], v[47:48]
	v_fma_f64 v[47:48], v[164:165], s[34:35], -v[47:48]
	v_mul_f64 v[164:165], v[158:159], s[20:21]
	v_add_f64 v[22:23], v[14:15], v[22:23]
	v_fma_f64 v[10:11], v[182:183], s[46:47], v[8:9]
	v_fma_f64 v[8:9], v[182:183], s[38:39], v[8:9]
	v_add_f64 v[63:64], v[14:15], v[20:21]
	v_mul_f64 v[20:21], v[108:109], s[30:31]
	v_mul_f64 v[182:183], v[120:121], s[34:35]
	v_add_f64 v[178:179], v[211:212], v[178:179]
	v_add_f64 v[53:54], v[12:13], v[53:54]
	;; [unrolled: 1-line block ×3, first 2 shown]
	v_mul_f64 v[12:13], v[96:97], s[6:7]
	v_add_f64 v[10:11], v[14:15], v[10:11]
	v_add_f64 v[61:62], v[14:15], v[8:9]
	v_mul_f64 v[14:15], v[102:103], s[42:43]
	v_fma_f64 v[36:37], v[112:113], s[36:37], v[20:21]
	v_fma_f64 v[20:21], v[112:113], s[40:41], v[20:21]
	v_add_f64 v[182:183], v[194:195], v[182:183]
	v_mul_f64 v[194:195], v[108:109], s[28:29]
	v_fma_f64 v[8:9], v[100:101], s[0:1], v[12:13]
	v_fma_f64 v[12:13], v[100:101], s[42:43], v[12:13]
	s_delay_alu instid0(VALU_DEP_3) | instskip(SKIP_1) | instid1(VALU_DEP_4)
	v_add_f64 v[194:195], v[196:197], v[194:195]
	v_mul_f64 v[196:197], v[96:97], s[20:21]
	v_add_f64 v[8:9], v[8:9], v[10:11]
	v_fma_f64 v[10:11], v[84:85], s[6:7], v[14:15]
	v_add_f64 v[12:13], v[12:13], v[61:62]
	v_fma_f64 v[14:15], v[84:85], s[6:7], -v[14:15]
	v_add_f64 v[196:197], v[198:199], v[196:197]
	v_mul_f64 v[198:199], v[128:129], s[24:25]
	v_add_f64 v[8:9], v[36:37], v[8:9]
	v_mul_f64 v[36:37], v[114:115], s[40:41]
	v_add_f64 v[10:11], v[10:11], v[53:54]
	v_add_f64 v[14:15], v[14:15], v[47:48]
	;; [unrolled: 1-line block ×4, first 2 shown]
	v_add_f64 v[198:199], v[198:199], -v[200:201]
	v_mul_f64 v[200:201], v[116:117], s[30:31]
	v_mul_f64 v[196:197], v[104:105], s[34:35]
	v_fma_f64 v[38:39], v[88:89], s[30:31], v[36:37]
	v_fma_f64 v[20:21], v[88:89], s[30:31], -v[36:37]
	v_fma_f64 v[36:37], v[148:149], s[20:21], -v[168:169]
	v_add_f64 v[24:25], v[194:195], v[24:25]
	v_mul_f64 v[194:195], v[152:153], s[16:17]
	v_add_f64 v[200:201], v[200:201], -v[202:203]
	v_mul_f64 v[202:203], v[84:85], s[20:21]
	v_add_f64 v[10:11], v[38:39], v[10:11]
	v_mul_f64 v[38:39], v[120:121], s[8:9]
	v_add_f64 v[14:15], v[20:21], v[14:15]
	v_add_f64 v[24:25], v[182:183], v[24:25]
	v_mul_f64 v[182:183], v[138:139], s[16:17]
	v_add_f64 v[194:195], v[213:214], v[194:195]
	v_add_f64 v[202:203], v[202:203], -v[204:205]
	v_mul_f64 v[204:205], v[88:89], s[28:29]
	v_fma_f64 v[40:41], v[126:127], s[10:11], v[38:39]
	v_fma_f64 v[20:21], v[126:127], s[48:49], v[38:39]
	v_mul_f64 v[38:39], v[102:103], s[44:45]
	v_add_f64 v[24:25], v[178:179], v[24:25]
	v_mul_f64 v[178:179], v[158:159], s[6:7]
	v_add_f64 v[26:27], v[202:203], v[26:27]
	scratch_load_b64 v[202:203], off, off offset:340 ; 8-byte Folded Reload
	v_add_f64 v[204:205], v[204:205], -v[206:207]
	v_add_f64 v[8:9], v[40:41], v[8:9]
	v_mul_f64 v[40:41], v[124:125], s[48:49]
	v_add_f64 v[12:13], v[20:21], v[12:13]
	v_add_f64 v[178:179], v[219:220], v[178:179]
	;; [unrolled: 1-line block ×3, first 2 shown]
	s_delay_alu instid0(VALU_DEP_4) | instskip(SKIP_2) | instid1(VALU_DEP_3)
	v_fma_f64 v[42:43], v[104:105], s[8:9], v[40:41]
	v_fma_f64 v[20:21], v[104:105], s[8:9], -v[40:41]
	v_mul_f64 v[40:41], v[108:109], s[20:21]
	v_add_f64 v[10:11], v[42:43], v[10:11]
	v_mul_f64 v[42:43], v[132:133], s[28:29]
	s_delay_alu instid0(VALU_DEP_4) | instskip(NEXT) | instid1(VALU_DEP_2)
	v_add_f64 v[14:15], v[20:21], v[14:15]
	v_fma_f64 v[53:54], v[142:143], s[54:55], v[42:43]
	v_fma_f64 v[20:21], v[142:143], s[52:53], v[42:43]
	;; [unrolled: 1-line block ×4, first 2 shown]
	s_delay_alu instid0(VALU_DEP_4) | instskip(SKIP_2) | instid1(VALU_DEP_2)
	v_add_f64 v[8:9], v[53:54], v[8:9]
	v_mul_f64 v[53:54], v[136:137], s[52:53]
	v_add_f64 v[12:13], v[20:21], v[12:13]
	v_fma_f64 v[73:74], v[116:117], s[28:29], v[53:54]
	v_fma_f64 v[20:21], v[116:117], s[28:29], -v[53:54]
	s_delay_alu instid0(VALU_DEP_2) | instskip(SKIP_1) | instid1(VALU_DEP_3)
	v_add_f64 v[10:11], v[73:74], v[10:11]
	v_mul_f64 v[73:74], v[144:145], s[16:17]
	v_add_f64 v[14:15], v[20:21], v[14:15]
	s_delay_alu instid0(VALU_DEP_2) | instskip(SKIP_1) | instid1(VALU_DEP_2)
	v_fma_f64 v[75:76], v[156:157], s[18:19], v[73:74]
	v_fma_f64 v[20:21], v[156:157], s[44:45], v[73:74]
	v_add_f64 v[8:9], v[75:76], v[8:9]
	v_mul_f64 v[75:76], v[162:163], s[44:45]
	s_delay_alu instid0(VALU_DEP_3) | instskip(SKIP_2) | instid1(VALU_DEP_3)
	v_add_f64 v[12:13], v[20:21], v[12:13]
	s_waitcnt vmcnt(0)
	v_add_f64 v[196:197], v[196:197], -v[202:203]
	v_fma_f64 v[77:78], v[128:129], s[16:17], v[75:76]
	v_fma_f64 v[20:21], v[128:129], s[16:17], -v[75:76]
	s_delay_alu instid0(VALU_DEP_3)
	v_add_f64 v[26:27], v[196:197], v[26:27]
	scratch_load_b64 v[196:197], off, off offset:388 ; 8-byte Folded Reload
	v_add_f64 v[10:11], v[77:78], v[10:11]
	v_mul_f64 v[77:78], v[152:153], s[24:25]
	v_add_f64 v[14:15], v[20:21], v[14:15]
	v_add_f64 v[26:27], v[200:201], v[26:27]
	scratch_load_b64 v[200:201], off, off offset:436 ; 8-byte Folded Reload
	v_fma_f64 v[79:80], v[170:171], s[50:51], v[77:78]
	v_fma_f64 v[20:21], v[170:171], s[26:27], v[77:78]
	v_add_f64 v[26:27], v[198:199], v[26:27]
	scratch_load_b64 v[198:199], off, off offset:396 ; 8-byte Folded Reload
	v_add_f64 v[8:9], v[79:80], v[8:9]
	v_mul_f64 v[79:80], v[172:173], s[26:27]
	v_add_f64 v[12:13], v[20:21], v[12:13]
	s_delay_alu instid0(VALU_DEP_2) | instskip(SKIP_1) | instid1(VALU_DEP_2)
	v_fma_f64 v[20:21], v[138:139], s[24:25], -v[79:80]
	v_fma_f64 v[81:82], v[138:139], s[24:25], v[79:80]
	v_add_f64 v[20:21], v[20:21], v[14:15]
	v_fma_f64 v[14:15], v[174:175], s[56:57], v[164:165]
	s_delay_alu instid0(VALU_DEP_3) | instskip(SKIP_2) | instid1(VALU_DEP_4)
	v_add_f64 v[81:82], v[81:82], v[10:11]
	v_fma_f64 v[10:11], v[174:175], s[22:23], v[164:165]
	v_mul_f64 v[164:165], v[158:159], s[24:25]
	v_add_f64 v[14:15], v[14:15], v[12:13]
	v_add_f64 v[12:13], v[36:37], v[20:21]
	v_mul_f64 v[36:37], v[96:97], s[16:17]
	v_add_f64 v[10:11], v[10:11], v[8:9]
	v_fma_f64 v[8:9], v[148:149], s[20:21], v[168:169]
	v_mul_f64 v[168:169], v[176:177], s[26:27]
	s_delay_alu instid0(VALU_DEP_4) | instskip(SKIP_1) | instid1(VALU_DEP_4)
	v_fma_f64 v[20:21], v[100:101], s[18:19], v[36:37]
	v_fma_f64 v[36:37], v[100:101], s[44:45], v[36:37]
	v_add_f64 v[8:9], v[8:9], v[81:82]
	s_delay_alu instid0(VALU_DEP_3) | instskip(SKIP_1) | instid1(VALU_DEP_4)
	v_add_f64 v[20:21], v[20:21], v[22:23]
	v_fma_f64 v[22:23], v[84:85], s[16:17], v[38:39]
	v_add_f64 v[36:37], v[36:37], v[63:64]
	v_fma_f64 v[38:39], v[84:85], s[16:17], -v[38:39]
	s_waitcnt vmcnt(2)
	v_add_f64 v[182:183], v[182:183], -v[196:197]
	scratch_load_b64 v[196:197], off, off offset:412 ; 8-byte Folded Reload
	v_add_f64 v[20:21], v[42:43], v[20:21]
	v_mul_f64 v[42:43], v[114:115], s[22:23]
	v_add_f64 v[22:23], v[22:23], v[55:56]
	v_add_f64 v[38:39], v[38:39], v[49:50]
	;; [unrolled: 1-line block ×4, first 2 shown]
	v_fma_f64 v[47:48], v[88:89], s[20:21], v[42:43]
	v_fma_f64 v[40:41], v[88:89], s[20:21], -v[42:43]
	v_fma_f64 v[42:43], v[148:149], s[24:25], -v[168:169]
	s_delay_alu instid0(VALU_DEP_3) | instskip(SKIP_1) | instid1(VALU_DEP_4)
	v_add_f64 v[22:23], v[47:48], v[22:23]
	v_mul_f64 v[47:48], v[120:121], s[28:29]
	v_add_f64 v[38:39], v[40:41], v[38:39]
	s_delay_alu instid0(VALU_DEP_2) | instskip(SKIP_1) | instid1(VALU_DEP_2)
	v_fma_f64 v[53:54], v[126:127], s[52:53], v[47:48]
	v_fma_f64 v[40:41], v[126:127], s[54:55], v[47:48]
	v_add_f64 v[20:21], v[53:54], v[20:21]
	v_mul_f64 v[53:54], v[124:125], s[54:55]
	s_delay_alu instid0(VALU_DEP_3) | instskip(NEXT) | instid1(VALU_DEP_2)
	v_add_f64 v[36:37], v[40:41], v[36:37]
	v_fma_f64 v[55:56], v[104:105], s[28:29], v[53:54]
	v_fma_f64 v[40:41], v[104:105], s[28:29], -v[53:54]
	s_delay_alu instid0(VALU_DEP_2) | instskip(SKIP_1) | instid1(VALU_DEP_3)
	v_add_f64 v[22:23], v[55:56], v[22:23]
	v_mul_f64 v[55:56], v[132:133], s[6:7]
	v_add_f64 v[38:39], v[40:41], v[38:39]
	s_delay_alu instid0(VALU_DEP_2) | instskip(SKIP_1) | instid1(VALU_DEP_2)
	v_fma_f64 v[61:62], v[142:143], s[42:43], v[55:56]
	v_fma_f64 v[40:41], v[142:143], s[0:1], v[55:56]
	v_add_f64 v[20:21], v[61:62], v[20:21]
	v_mul_f64 v[61:62], v[136:137], s[0:1]
	s_delay_alu instid0(VALU_DEP_3) | instskip(NEXT) | instid1(VALU_DEP_2)
	v_add_f64 v[36:37], v[40:41], v[36:37]
	v_fma_f64 v[73:74], v[116:117], s[6:7], v[61:62]
	v_fma_f64 v[40:41], v[116:117], s[6:7], -v[61:62]
	s_delay_alu instid0(VALU_DEP_2) | instskip(SKIP_1) | instid1(VALU_DEP_3)
	;; [unrolled: 13-line block ×4, first 2 shown]
	v_add_f64 v[81:82], v[81:82], v[22:23]
	v_fma_f64 v[22:23], v[174:175], s[50:51], v[164:165]
	v_add_f64 v[40:41], v[40:41], v[38:39]
	v_fma_f64 v[38:39], v[174:175], s[26:27], v[164:165]
	s_delay_alu instid0(VALU_DEP_3) | instskip(SKIP_1) | instid1(VALU_DEP_3)
	v_add_f64 v[22:23], v[22:23], v[20:21]
	v_fma_f64 v[20:21], v[148:149], s[24:25], v[168:169]
	v_add_f64 v[38:39], v[38:39], v[36:37]
	v_add_f64 v[36:37], v[42:43], v[40:41]
	s_delay_alu instid0(VALU_DEP_3) | instskip(SKIP_1) | instid1(VALU_DEP_1)
	v_add_f64 v[20:21], v[20:21], v[81:82]
	v_mul_f64 v[81:82], v[144:145], s[24:25]
	v_add_f64 v[81:82], v[221:222], v[81:82]
	s_delay_alu instid0(VALU_DEP_1) | instskip(SKIP_1) | instid1(VALU_DEP_2)
	v_add_f64 v[24:25], v[81:82], v[24:25]
	v_mul_f64 v[81:82], v[148:149], s[6:7]
	v_add_f64 v[24:25], v[194:195], v[24:25]
	s_waitcnt vmcnt(0)
	s_delay_alu instid0(VALU_DEP_2) | instskip(SKIP_2) | instid1(VALU_DEP_4)
	v_add_f64 v[81:82], v[81:82], -v[196:197]
	v_mul_f64 v[196:197], v[84:85], s[28:29]
	v_mul_f64 v[194:195], v[128:129], s[6:7]
	v_add_f64 v[26:27], v[178:179], v[24:25]
	s_delay_alu instid0(VALU_DEP_4) | instskip(NEXT) | instid1(VALU_DEP_4)
	v_add_f64 v[24:25], v[81:82], v[182:183]
	v_add_f64 v[196:197], v[196:197], -v[198:199]
	v_mul_f64 v[81:82], v[144:145], s[6:7]
	v_mul_f64 v[182:183], v[96:97], s[28:29]
	;; [unrolled: 1-line block ×4, first 2 shown]
	v_add_f64 v[90:91], v[194:195], -v[90:91]
	v_mul_f64 v[194:195], v[116:117], s[8:9]
	v_add_f64 v[30:31], v[196:197], v[30:31]
	scratch_load_b64 v[196:197], off, off offset:444 ; 8-byte Folded Reload
	v_add_f64 v[81:82], v[160:161], v[81:82]
	v_mul_f64 v[160:161], v[132:133], s[8:9]
	v_add_f64 v[182:183], v[215:216], v[182:183]
	v_add_f64 v[178:179], v[223:224], v[178:179]
	v_add_f64 v[198:199], v[198:199], -v[200:201]
	v_add_f64 v[194:195], v[194:195], -v[235:236]
	v_add_f64 v[106:107], v[106:107], v[160:161]
	v_mul_f64 v[160:161], v[120:121], s[24:25]
	v_add_f64 v[28:29], v[182:183], v[28:29]
	v_mul_f64 v[182:183], v[104:105], s[24:25]
	v_add_f64 v[30:31], v[198:199], v[30:31]
	s_delay_alu instid0(VALU_DEP_4) | instskip(NEXT) | instid1(VALU_DEP_4)
	v_add_f64 v[160:161], v[239:240], v[160:161]
	v_add_f64 v[28:29], v[178:179], v[28:29]
	v_mul_f64 v[178:179], v[152:153], s[20:21]
	s_delay_alu instid0(VALU_DEP_2) | instskip(SKIP_1) | instid1(VALU_DEP_3)
	v_add_f64 v[28:29], v[160:161], v[28:29]
	v_mul_f64 v[160:161], v[138:139], s[20:21]
	v_add_f64 v[178:179], v[243:244], v[178:179]
	s_delay_alu instid0(VALU_DEP_3) | instskip(NEXT) | instid1(VALU_DEP_3)
	v_add_f64 v[28:29], v[106:107], v[28:29]
	v_add_f64 v[160:161], v[160:161], -v[237:238]
	v_mul_f64 v[106:107], v[158:159], s[30:31]
	s_delay_alu instid0(VALU_DEP_3) | instskip(SKIP_1) | instid1(VALU_DEP_3)
	v_add_f64 v[28:29], v[81:82], v[28:29]
	v_mul_f64 v[81:82], v[148:149], s[30:31]
	v_add_f64 v[6:7], v[6:7], v[106:107]
	v_mul_f64 v[106:107], v[108:109], s[24:25]
	s_delay_alu instid0(VALU_DEP_4) | instskip(NEXT) | instid1(VALU_DEP_4)
	v_add_f64 v[28:29], v[178:179], v[28:29]
	v_add_f64 v[81:82], v[81:82], -v[231:232]
	s_delay_alu instid0(VALU_DEP_3) | instskip(SKIP_1) | instid1(VALU_DEP_1)
	v_add_f64 v[0:1], v[0:1], v[106:107]
	v_mul_f64 v[106:107], v[96:97], s[34:35]
	v_add_f64 v[106:107], v[233:234], v[106:107]
	s_delay_alu instid0(VALU_DEP_1) | instskip(SKIP_3) | instid1(VALU_DEP_3)
	v_add_f64 v[32:33], v[106:107], v[32:33]
	v_mul_f64 v[106:107], v[104:105], s[6:7]
	s_waitcnt vmcnt(0)
	v_add_f64 v[182:183], v[182:183], -v[196:197]
	v_add_f64 v[0:1], v[0:1], v[32:33]
	s_delay_alu instid0(VALU_DEP_3) | instskip(NEXT) | instid1(VALU_DEP_3)
	v_add_f64 v[106:107], v[106:107], -v[229:230]
	v_add_f64 v[30:31], v[182:183], v[30:31]
	s_delay_alu instid0(VALU_DEP_1) | instskip(NEXT) | instid1(VALU_DEP_1)
	v_add_f64 v[30:31], v[194:195], v[30:31]
	v_add_f64 v[30:31], v[90:91], v[30:31]
	s_delay_alu instid0(VALU_DEP_1) | instskip(SKIP_2) | instid1(VALU_DEP_3)
	v_add_f64 v[90:91], v[160:161], v[30:31]
	v_add_f64 v[30:31], v[6:7], v[28:29]
	v_mul_f64 v[6:7], v[144:145], s[30:31]
	v_add_f64 v[28:29], v[81:82], v[90:91]
	v_mul_f64 v[90:91], v[120:121], s[6:7]
	v_mul_f64 v[81:82], v[132:133], s[16:17]
	s_delay_alu instid0(VALU_DEP_4) | instskip(NEXT) | instid1(VALU_DEP_3)
	v_add_f64 v[6:7], v[188:189], v[6:7]
	v_add_f64 v[90:91], v[118:119], v[90:91]
	v_mul_f64 v[118:119], v[128:129], s[30:31]
	s_delay_alu instid0(VALU_DEP_4) | instskip(SKIP_1) | instid1(VALU_DEP_4)
	v_add_f64 v[81:82], v[154:155], v[81:82]
	v_mul_f64 v[154:155], v[88:89], s[24:25]
	v_add_f64 v[0:1], v[90:91], v[0:1]
	s_delay_alu instid0(VALU_DEP_4) | instskip(SKIP_1) | instid1(VALU_DEP_4)
	v_add_f64 v[118:119], v[118:119], -v[146:147]
	v_mul_f64 v[146:147], v[116:117], s[16:17]
	v_add_f64 v[154:155], v[154:155], -v[225:226]
	v_mul_f64 v[90:91], v[138:139], s[28:29]
	v_add_f64 v[0:1], v[81:82], v[0:1]
	v_mul_f64 v[81:82], v[158:159], s[8:9]
	v_add_f64 v[98:99], v[146:147], -v[98:99]
	v_mul_f64 v[146:147], v[84:85], s[34:35]
	v_add_f64 v[86:87], v[90:91], -v[86:87]
	v_mul_f64 v[90:91], v[96:97], s[30:31]
	v_add_f64 v[0:1], v[6:7], v[0:1]
	v_add_f64 v[81:82], v[110:111], v[81:82]
	v_mul_f64 v[110:111], v[88:89], s[8:9]
	v_add_f64 v[146:147], v[146:147], -v[217:218]
	v_add_f64 v[2:3], v[2:3], v[90:91]
	v_mul_f64 v[90:91], v[128:129], s[20:21]
	s_delay_alu instid0(VALU_DEP_4) | instskip(NEXT) | instid1(VALU_DEP_4)
	v_add_f64 v[110:111], v[110:111], -v[241:242]
	v_add_f64 v[34:35], v[146:147], v[34:35]
	s_delay_alu instid0(VALU_DEP_4) | instskip(NEXT) | instid1(VALU_DEP_4)
	v_add_f64 v[2:3], v[2:3], v[69:70]
	v_add_f64 v[90:91], v[90:91], -v[186:187]
	s_delay_alu instid0(VALU_DEP_3) | instskip(SKIP_1) | instid1(VALU_DEP_2)
	v_add_f64 v[32:33], v[154:155], v[34:35]
	v_mul_f64 v[34:35], v[152:153], s[28:29]
	v_add_f64 v[32:33], v[106:107], v[32:33]
	s_delay_alu instid0(VALU_DEP_2) | instskip(SKIP_2) | instid1(VALU_DEP_4)
	v_add_f64 v[34:35], v[122:123], v[34:35]
	v_mul_f64 v[106:107], v[84:85], s[30:31]
	v_mul_f64 v[122:123], v[176:177], s[44:45]
	v_add_f64 v[32:33], v[98:99], v[32:33]
	s_delay_alu instid0(VALU_DEP_4) | instskip(NEXT) | instid1(VALU_DEP_4)
	v_add_f64 v[0:1], v[34:35], v[0:1]
	v_add_f64 v[106:107], v[106:107], -v[227:228]
	v_mul_f64 v[98:99], v[116:117], s[34:35]
	s_delay_alu instid0(VALU_DEP_4)
	v_add_f64 v[6:7], v[118:119], v[32:33]
	v_mul_f64 v[32:33], v[148:149], s[8:9]
	v_add_f64 v[34:35], v[81:82], v[0:1]
	v_mul_f64 v[81:82], v[120:121], s[16:17]
	;; [unrolled: 2-line block ×3, first 2 shown]
	v_mul_f64 v[0:1], v[144:145], s[20:21]
	v_add_f64 v[98:99], v[98:99], -v[150:151]
	v_add_f64 v[6:7], v[86:87], v[6:7]
	v_mul_f64 v[86:87], v[108:109], s[8:9]
	v_add_f64 v[32:33], v[32:33], -v[245:246]
	v_add_f64 v[81:82], v[180:181], v[81:82]
	v_add_f64 v[69:70], v[110:111], v[69:70]
	v_add_f64 v[4:5], v[71:72], -v[4:5]
	v_add_f64 v[0:1], v[192:193], v[0:1]
	v_mul_f64 v[71:72], v[152:153], s[6:7]
	v_add_f64 v[86:87], v[134:135], v[86:87]
	v_add_f64 v[32:33], v[32:33], v[6:7]
	v_mul_f64 v[6:7], v[132:133], s[34:35]
	v_add_f64 v[4:5], v[4:5], v[69:70]
	v_mul_f64 v[69:70], v[138:139], s[6:7]
	v_add_f64 v[71:72], v[184:185], v[71:72]
	v_add_f64 v[2:3], v[86:87], v[2:3]
	;; [unrolled: 1-line block ×4, first 2 shown]
	v_add_f64 v[69:70], v[69:70], -v[140:141]
	s_delay_alu instid0(VALU_DEP_4) | instskip(NEXT) | instid1(VALU_DEP_1)
	v_add_f64 v[2:3], v[81:82], v[2:3]
	v_add_f64 v[2:3], v[6:7], v[2:3]
	v_mul_f64 v[6:7], v[158:159], s[28:29]
	s_delay_alu instid0(VALU_DEP_2) | instskip(SKIP_2) | instid1(VALU_DEP_4)
	v_add_f64 v[0:1], v[0:1], v[2:3]
	v_add_f64 v[2:3], v[90:91], v[4:5]
	v_mul_f64 v[4:5], v[148:149], s[28:29]
	v_add_f64 v[6:7], v[166:167], v[6:7]
	s_delay_alu instid0(VALU_DEP_4) | instskip(NEXT) | instid1(VALU_DEP_4)
	v_add_f64 v[0:1], v[71:72], v[0:1]
	v_add_f64 v[69:70], v[69:70], v[2:3]
	s_delay_alu instid0(VALU_DEP_4) | instskip(NEXT) | instid1(VALU_DEP_3)
	v_add_f64 v[4:5], v[4:5], -v[130:131]
	v_add_f64 v[2:3], v[6:7], v[0:1]
	s_delay_alu instid0(VALU_DEP_2) | instskip(SKIP_1) | instid1(VALU_DEP_1)
	v_add_f64 v[0:1], v[4:5], v[69:70]
	v_mul_f64 v[69:70], v[96:97], s[24:25]
	v_fma_f64 v[4:5], v[100:101], s[50:51], v[69:70]
	v_fma_f64 v[40:41], v[100:101], s[26:27], v[69:70]
	s_delay_alu instid0(VALU_DEP_2) | instskip(SKIP_1) | instid1(VALU_DEP_3)
	v_add_f64 v[4:5], v[4:5], v[67:68]
	v_mul_f64 v[67:68], v[102:103], s[50:51]
	v_add_f64 v[40:41], v[40:41], v[65:66]
	scratch_load_b64 v[65:66], off, off offset:52 ; 8-byte Folded Reload
	v_fma_f64 v[6:7], v[84:85], s[24:25], -v[67:68]
	v_fma_f64 v[61:62], v[84:85], s[24:25], v[67:68]
	scratch_load_b64 v[67:68], off, off offset:68 ; 8-byte Folded Reload
	v_add_f64 v[6:7], v[6:7], v[51:52]
	v_mul_f64 v[51:52], v[108:109], s[6:7]
	v_add_f64 v[57:58], v[61:62], v[57:58]
	s_clause 0x1
	scratch_load_b64 v[61:62], off, off offset:164
	scratch_load_b64 v[63:64], off, off offset:132
	v_fma_f64 v[71:72], v[112:113], s[0:1], v[51:52]
	v_fma_f64 v[51:52], v[112:113], s[42:43], v[51:52]
	s_delay_alu instid0(VALU_DEP_2) | instskip(SKIP_1) | instid1(VALU_DEP_3)
	v_add_f64 v[4:5], v[71:72], v[4:5]
	v_mul_f64 v[71:72], v[114:115], s[0:1]
	v_add_f64 v[40:41], v[51:52], v[40:41]
	s_delay_alu instid0(VALU_DEP_2) | instskip(SKIP_1) | instid1(VALU_DEP_2)
	v_fma_f64 v[81:82], v[88:89], s[6:7], -v[71:72]
	v_fma_f64 v[51:52], v[88:89], s[6:7], v[71:72]
	v_add_f64 v[6:7], v[81:82], v[6:7]
	v_mul_f64 v[81:82], v[120:121], s[30:31]
	s_delay_alu instid0(VALU_DEP_3) | instskip(SKIP_3) | instid1(VALU_DEP_2)
	v_add_f64 v[51:52], v[51:52], v[57:58]
	scratch_load_b64 v[57:58], off, off offset:84 ; 8-byte Folded Reload
	v_fma_f64 v[86:87], v[126:127], s[40:41], v[81:82]
	v_fma_f64 v[53:54], v[126:127], s[36:37], v[81:82]
	v_add_f64 v[4:5], v[86:87], v[4:5]
	v_mul_f64 v[86:87], v[124:125], s[40:41]
	s_delay_alu instid0(VALU_DEP_3) | instskip(SKIP_1) | instid1(VALU_DEP_3)
	v_add_f64 v[40:41], v[53:54], v[40:41]
	v_mul_f64 v[124:125], v[158:159], s[16:17]
	v_fma_f64 v[90:91], v[104:105], s[30:31], -v[86:87]
	v_fma_f64 v[53:54], v[104:105], s[30:31], v[86:87]
	s_delay_alu instid0(VALU_DEP_3) | instskip(NEXT) | instid1(VALU_DEP_3)
	v_fma_f64 v[55:56], v[174:175], s[18:19], v[124:125]
	v_add_f64 v[6:7], v[90:91], v[6:7]
	v_mul_f64 v[90:91], v[132:133], s[20:21]
	s_delay_alu instid0(VALU_DEP_4) | instskip(SKIP_3) | instid1(VALU_DEP_2)
	v_add_f64 v[51:52], v[53:54], v[51:52]
	scratch_load_b64 v[53:54], off, off offset:148 ; 8-byte Folded Reload
	v_fma_f64 v[98:99], v[142:143], s[56:57], v[90:91]
	v_fma_f64 v[49:50], v[142:143], s[22:23], v[90:91]
	v_add_f64 v[4:5], v[98:99], v[4:5]
	v_mul_f64 v[98:99], v[136:137], s[56:57]
	s_delay_alu instid0(VALU_DEP_3) | instskip(NEXT) | instid1(VALU_DEP_2)
	v_add_f64 v[40:41], v[49:50], v[40:41]
	v_fma_f64 v[102:103], v[116:117], s[20:21], -v[98:99]
	v_fma_f64 v[49:50], v[116:117], s[20:21], v[98:99]
	s_delay_alu instid0(VALU_DEP_2) | instskip(SKIP_1) | instid1(VALU_DEP_3)
	v_add_f64 v[6:7], v[102:103], v[6:7]
	v_mul_f64 v[102:103], v[144:145], s[8:9]
	v_add_f64 v[49:50], v[49:50], v[51:52]
	scratch_load_b64 v[51:52], off, off offset:180 ; 8-byte Folded Reload
	v_fma_f64 v[106:107], v[156:157], s[10:11], v[102:103]
	v_fma_f64 v[47:48], v[156:157], s[48:49], v[102:103]
	s_delay_alu instid0(VALU_DEP_2) | instskip(SKIP_1) | instid1(VALU_DEP_3)
	v_add_f64 v[4:5], v[106:107], v[4:5]
	v_mul_f64 v[106:107], v[162:163], s[10:11]
	v_add_f64 v[40:41], v[47:48], v[40:41]
	s_delay_alu instid0(VALU_DEP_2) | instskip(SKIP_1) | instid1(VALU_DEP_2)
	v_fma_f64 v[110:111], v[128:129], s[8:9], -v[106:107]
	v_fma_f64 v[47:48], v[128:129], s[8:9], v[106:107]
	v_add_f64 v[6:7], v[110:111], v[6:7]
	v_mul_f64 v[110:111], v[152:153], s[34:35]
	s_delay_alu instid0(VALU_DEP_3) | instskip(SKIP_1) | instid1(VALU_DEP_3)
	v_add_f64 v[47:48], v[47:48], v[49:50]
	v_fma_f64 v[49:50], v[148:149], s[16:17], v[122:123]
	v_fma_f64 v[114:115], v[170:171], s[38:39], v[110:111]
	v_fma_f64 v[42:43], v[170:171], s[46:47], v[110:111]
	s_delay_alu instid0(VALU_DEP_2) | instskip(SKIP_1) | instid1(VALU_DEP_3)
	v_add_f64 v[4:5], v[114:115], v[4:5]
	v_mul_f64 v[114:115], v[172:173], s[38:39]
	v_add_f64 v[40:41], v[42:43], v[40:41]
	s_delay_alu instid0(VALU_DEP_2) | instskip(SKIP_1) | instid1(VALU_DEP_2)
	v_fma_f64 v[42:43], v[138:139], s[34:35], v[114:115]
	v_fma_f64 v[118:119], v[138:139], s[34:35], -v[114:115]
	v_add_f64 v[47:48], v[42:43], v[47:48]
	s_delay_alu instid0(VALU_DEP_4)
	v_add_f64 v[42:43], v[55:56], v[40:41]
	scratch_load_b64 v[55:56], off, off offset:116 ; 8-byte Folded Reload
	v_add_f64 v[118:119], v[118:119], v[6:7]
	v_fma_f64 v[6:7], v[174:175], s[44:45], v[124:125]
	v_add_f64 v[40:41], v[49:50], v[47:48]
	scratch_load_b64 v[49:50], off, off offset:212 ; 8-byte Folded Reload
	v_mul_f64 v[47:48], v[144:145], s[28:29]
	v_add_f64 v[6:7], v[6:7], v[4:5]
	v_fma_f64 v[4:5], v[148:149], s[16:17], -v[122:123]
	s_delay_alu instid0(VALU_DEP_1) | instskip(SKIP_1) | instid1(VALU_DEP_4)
	v_add_f64 v[4:5], v[4:5], v[118:119]
	s_waitcnt vmcnt(0)
	v_add_f64 v[47:48], v[49:50], v[47:48]
	v_mul_f64 v[49:50], v[132:133], s[24:25]
	s_delay_alu instid0(VALU_DEP_1) | instskip(SKIP_1) | instid1(VALU_DEP_1)
	v_add_f64 v[49:50], v[51:52], v[49:50]
	v_mul_f64 v[51:52], v[120:121], s[20:21]
	v_add_f64 v[51:52], v[53:54], v[51:52]
	v_mul_f64 v[53:54], v[108:109], s[16:17]
	s_delay_alu instid0(VALU_DEP_1) | instskip(SKIP_1) | instid1(VALU_DEP_1)
	v_add_f64 v[53:54], v[55:56], v[53:54]
	v_mul_f64 v[55:56], v[96:97], s[8:9]
	v_add_f64 v[55:56], v[57:58], v[55:56]
	v_mul_f64 v[57:58], v[128:129], s[28:29]
	s_delay_alu instid0(VALU_DEP_2) | instskip(NEXT) | instid1(VALU_DEP_2)
	v_add_f64 v[45:46], v[55:56], v[45:46]
	v_add_f64 v[57:58], v[57:58], -v[61:62]
	v_mul_f64 v[61:62], v[116:117], s[24:25]
	s_delay_alu instid0(VALU_DEP_3) | instskip(NEXT) | instid1(VALU_DEP_2)
	v_add_f64 v[45:46], v[53:54], v[45:46]
	v_add_f64 v[61:62], v[61:62], -v[63:64]
	v_mul_f64 v[63:64], v[84:85], s[8:9]
	s_delay_alu instid0(VALU_DEP_3) | instskip(NEXT) | instid1(VALU_DEP_2)
	v_add_f64 v[45:46], v[51:52], v[45:46]
	v_add_f64 v[63:64], v[63:64], -v[65:66]
	v_mul_f64 v[65:66], v[88:89], s[16:17]
	s_delay_alu instid0(VALU_DEP_3) | instskip(NEXT) | instid1(VALU_DEP_3)
	v_add_f64 v[45:46], v[49:50], v[45:46]
	v_add_f64 v[55:56], v[63:64], v[59:60]
	scratch_load_b64 v[63:64], off, off offset:100 ; 8-byte Folded Reload
	v_add_f64 v[65:66], v[65:66], -v[67:68]
	v_mul_f64 v[59:60], v[104:105], s[20:21]
	v_add_f64 v[45:46], v[47:48], v[45:46]
	s_delay_alu instid0(VALU_DEP_3) | instskip(SKIP_2) | instid1(VALU_DEP_4)
	v_add_f64 v[53:54], v[65:66], v[55:56]
	v_mul_f64 v[55:56], v[152:153], s[30:31]
	s_waitcnt vmcnt(0)
	v_add_f64 v[59:60], v[59:60], -v[63:64]
	scratch_load_b64 v[63:64], off, off offset:244 ; 8-byte Folded Reload
	v_add_f64 v[51:52], v[59:60], v[53:54]
	scratch_load_b64 v[59:60], off, off offset:196 ; 8-byte Folded Reload
	v_mul_f64 v[53:54], v[138:139], s[30:31]
	v_add_f64 v[49:50], v[61:62], v[51:52]
	v_mul_f64 v[51:52], v[158:159], s[34:35]
	s_delay_alu instid0(VALU_DEP_2)
	v_add_f64 v[47:48], v[57:58], v[49:50]
	scratch_load_b64 v[57:58], off, off offset:228 ; 8-byte Folded Reload
	v_mul_f64 v[49:50], v[148:149], s[34:35]
	s_waitcnt vmcnt(2)
	v_add_f64 v[55:56], v[63:64], v[55:56]
	s_waitcnt vmcnt(1)
	v_add_f64 v[53:54], v[53:54], -v[59:60]
	scratch_load_b64 v[59:60], off, off offset:260 ; 8-byte Folded Reload
	v_add_f64 v[45:46], v[55:56], v[45:46]
	v_add_f64 v[53:54], v[53:54], v[47:48]
	s_waitcnt vmcnt(1)
	v_add_f64 v[49:50], v[49:50], -v[57:58]
	s_waitcnt vmcnt(0)
	v_add_f64 v[51:52], v[59:60], v[51:52]
	s_delay_alu instid0(VALU_DEP_1) | instskip(NEXT) | instid1(VALU_DEP_3)
	v_add_f64 v[47:48], v[51:52], v[45:46]
	v_add_f64 v[45:46], v[49:50], v[53:54]
	v_mul_lo_u16 v49, v250, 17
	s_delay_alu instid0(VALU_DEP_1) | instskip(NEXT) | instid1(VALU_DEP_1)
	v_and_b32_e32 v49, 0xffff, v49
	v_add_lshl_u32 v49, v44, v49, 4
	ds_store_b128 v49, v[24:27] offset:32
	ds_store_b128 v49, v[28:31] offset:48
	;; [unrolled: 1-line block ×8, first 2 shown]
	scratch_load_b128 v[0:3], off, off offset:36 ; 16-byte Folded Reload
	s_waitcnt vmcnt(0)
	ds_store_b128 v49, v[0:3] offset:208
	scratch_load_b128 v[0:3], off, off offset:20 ; 16-byte Folded Reload
	s_waitcnt vmcnt(0)
	ds_store_b128 v49, v[0:3] offset:224
	;; [unrolled: 3-line block ×3, first 2 shown]
	ds_store_b128 v49, v[8:11] offset:144
	ds_store_b128 v49, v[20:23] offset:160
	;; [unrolled: 1-line block ×4, first 2 shown]
	ds_store_b128 v49, v[16:19]
	ds_store_b128 v49, v[92:95] offset:256
.LBB0_7:
	s_or_b32 exec_lo, exec_lo, s33
	v_add_co_u32 v0, null, 0xcc, v250
	v_add_nc_u16 v1, v250, 0x66
	v_and_b32_e32 v3, 0xff, v250
	v_add_co_u32 v6, null, 0x132, v250
	s_delay_alu instid0(VALU_DEP_4) | instskip(NEXT) | instid1(VALU_DEP_4)
	v_and_b32_e32 v2, 0xffff, v0
	v_and_b32_e32 v11, 0xff, v1
	s_delay_alu instid0(VALU_DEP_4) | instskip(NEXT) | instid1(VALU_DEP_4)
	v_mul_lo_u16 v3, 0xf1, v3
	v_and_b32_e32 v4, 0xffff, v6
	s_load_b128 s[4:7], s[4:5], 0x0
	v_mul_u32_u24_e32 v5, 0xf0f1, v2
	v_mul_lo_u16 v7, 0xf1, v11
	v_lshrrev_b16 v10, 12, v3
	v_mul_u32_u24_e32 v4, 0xf0f1, v4
	s_waitcnt lgkmcnt(0)
	v_lshrrev_b32_e32 v3, 20, v5
	v_lshrrev_b16 v9, 12, v7
	v_mul_lo_u16 v5, v10, 17
	v_lshrrev_b32_e32 v4, 20, v4
	s_barrier
	v_mul_lo_u16 v7, v3, 17
	v_mul_lo_u16 v8, v9, 17
	v_sub_nc_u16 v12, v250, v5
	v_mul_lo_u16 v13, v4, 17
	buffer_gl0_inv
	v_sub_nc_u16 v5, v0, v7
	v_sub_nc_u16 v14, v1, v8
	v_and_b32_e32 v7, 0xff, v12
	v_sub_nc_u16 v8, v6, v13
	v_add_lshl_u32 v192, v44, v250, 4
	v_lshlrev_b16 v12, 1, v5
	v_and_b32_e32 v6, 0xff, v14
	v_lshlrev_b32_e32 v13, 5, v7
	v_lshlrev_b16 v14, 1, v8
	s_clause 0x1
	global_load_b128 v[30:33], v13, s[2:3]
	global_load_b128 v[18:21], v13, s[2:3] offset:16
	v_and_b32_e32 v12, 0xffff, v12
	v_and_b32_e32 v13, 0xffff, v14
	v_lshlrev_b32_e32 v15, 5, v6
	s_clause 0x1
	global_load_b128 v[34:37], v15, s[2:3]
	global_load_b128 v[22:25], v15, s[2:3] offset:16
	v_lshlrev_b32_e32 v12, 4, v12
	v_lshlrev_b32_e32 v13, 4, v13
	s_clause 0x3
	global_load_b128 v[26:29], v12, s[2:3]
	global_load_b128 v[14:17], v12, s[2:3] offset:16
	global_load_b128 v[114:117], v13, s[2:3]
	global_load_b128 v[38:41], v13, s[2:3] offset:16
	ds_load_b128 v[45:48], v192 offset:6528
	ds_load_b128 v[49:52], v192 offset:13056
	;; [unrolled: 1-line block ×8, first 2 shown]
	s_mov_b32 s8, 0xe8584caa
	s_mov_b32 s9, 0x3febb67a
	;; [unrolled: 1-line block ×4, first 2 shown]
	v_subrev_nc_u32_e32 v12, 51, v250
	v_cmp_gt_u16_e64 s0, 51, v250
	v_mul_u32_u24_e32 v2, 0xa0a1, v2
	v_mul_lo_u16 v11, 0xa1, v11
	v_and_b32_e32 v10, 0xffff, v10
	s_delay_alu instid0(VALU_DEP_4) | instskip(NEXT) | instid1(VALU_DEP_1)
	v_cndmask_b32_e64 v12, v12, v250, s0
	v_mul_hi_i32_i24_e32 v13, 48, v12
	s_waitcnt vmcnt(7) lgkmcnt(7)
	v_mul_f64 v[77:78], v[47:48], v[32:33]
	v_mul_f64 v[79:80], v[45:46], v[32:33]
	s_waitcnt vmcnt(6) lgkmcnt(6)
	v_mul_f64 v[81:82], v[51:52], v[20:21]
	v_mul_f64 v[83:84], v[49:50], v[20:21]
	s_clause 0x1
	scratch_store_b128 off, v[30:33], off offset:116
	scratch_store_b128 off, v[18:21], off offset:68
	s_waitcnt vmcnt(5) lgkmcnt(5)
	v_mul_f64 v[85:86], v[55:56], v[36:37]
	v_mul_f64 v[87:88], v[53:54], v[36:37]
	s_waitcnt vmcnt(4) lgkmcnt(4)
	v_mul_f64 v[89:90], v[59:60], v[24:25]
	v_mul_f64 v[96:97], v[57:58], v[24:25]
	s_waitcnt vmcnt(3) lgkmcnt(3)
	v_mul_f64 v[98:99], v[63:64], v[28:29]
	s_waitcnt vmcnt(2)
	scratch_store_b128 off, v[14:17], off offset:52 ; 16-byte Folded Spill
	s_waitcnt lgkmcnt(2)
	v_mul_f64 v[100:101], v[67:68], v[16:17]
	v_mul_f64 v[102:103], v[61:62], v[28:29]
	;; [unrolled: 1-line block ×3, first 2 shown]
	s_waitcnt vmcnt(1) lgkmcnt(1)
	v_mul_f64 v[106:107], v[71:72], v[116:117]
	v_mul_f64 v[108:109], v[69:70], v[116:117]
	s_waitcnt vmcnt(0) lgkmcnt(0)
	v_mul_f64 v[110:111], v[75:76], v[40:41]
	v_mul_f64 v[112:113], v[73:74], v[40:41]
	s_clause 0x4
	scratch_store_b128 off, v[34:37], off offset:132
	scratch_store_b128 off, v[22:25], off offset:84
	;; [unrolled: 1-line block ×5, first 2 shown]
	v_and_b32_e32 v16, 0xffff, v9
	v_fma_f64 v[77:78], v[45:46], v[30:31], -v[77:78]
	v_fma_f64 v[79:80], v[47:48], v[30:31], v[79:80]
	v_fma_f64 v[81:82], v[49:50], v[18:19], -v[81:82]
	v_fma_f64 v[83:84], v[51:52], v[18:19], v[83:84]
	ds_load_b128 v[45:48], v192
	ds_load_b128 v[49:52], v192 offset:1632
	v_fma_f64 v[85:86], v[53:54], v[34:35], -v[85:86]
	v_fma_f64 v[87:88], v[55:56], v[34:35], v[87:88]
	v_fma_f64 v[89:90], v[57:58], v[22:23], -v[89:90]
	v_fma_f64 v[96:97], v[59:60], v[22:23], v[96:97]
	v_fma_f64 v[61:62], v[61:62], v[26:27], -v[98:99]
	ds_load_b128 v[53:56], v192 offset:3264
	ds_load_b128 v[57:60], v192 offset:4896
	v_fma_f64 v[65:66], v[65:66], v[14:15], -v[100:101]
	v_fma_f64 v[63:64], v[63:64], v[26:27], v[102:103]
	v_fma_f64 v[67:68], v[67:68], v[14:15], v[104:105]
	v_fma_f64 v[69:70], v[69:70], v[114:115], -v[106:107]
	v_fma_f64 v[71:72], v[71:72], v[114:115], v[108:109]
	v_fma_f64 v[73:74], v[73:74], v[38:39], -v[110:111]
	v_fma_f64 v[75:76], v[75:76], v[38:39], v[112:113]
	v_lshrrev_b32_e32 v15, 21, v2
	v_lshrrev_b16 v14, 13, v11
	v_mul_i32_i24_e32 v11, 48, v12
	v_mul_u32_u24_e32 v2, 51, v10
	s_waitcnt lgkmcnt(0)
	s_waitcnt_vscnt null, 0x0
	v_mul_lo_u16 v18, v15, 51
	v_mul_lo_u16 v17, v14, 51
	v_add_co_u32 v9, s0, s2, v11
	s_delay_alu instid0(VALU_DEP_1)
	v_add_co_ci_u32_e64 v10, s0, s3, v13, s0
	v_mul_u32_u24_e32 v11, 51, v16
	v_sub_nc_u16 v13, v0, v18
	v_add_nc_u32_e32 v0, v2, v7
	v_mad_u16 v2, v3, 51, v5
	v_mad_u16 v3, v4, 51, v8
	v_sub_nc_u16 v1, v1, v17
	v_add_f64 v[114:115], v[45:46], v[77:78]
	v_mul_lo_u16 v4, v13, 48
	v_add_f64 v[98:99], v[77:78], v[81:82]
	v_add_f64 v[100:101], v[79:80], v[83:84]
	v_add_f64 v[116:117], v[79:80], -v[83:84]
	v_add_f64 v[79:80], v[47:48], v[79:80]
	v_add_f64 v[77:78], v[77:78], -v[81:82]
	v_add_nc_u32_e32 v5, v11, v6
	v_add_f64 v[118:119], v[49:50], v[85:86]
	v_add_f64 v[120:121], v[51:52], v[87:88]
	;; [unrolled: 1-line block ×5, first 2 shown]
	v_add_f64 v[87:88], v[87:88], -v[96:97]
	v_add_f64 v[106:107], v[61:62], v[65:66]
	v_add_f64 v[124:125], v[55:56], v[63:64]
	;; [unrolled: 1-line block ×7, first 2 shown]
	v_add_f64 v[85:86], v[85:86], -v[89:90]
	v_add_f64 v[130:131], v[63:64], -v[67:68]
	;; [unrolled: 1-line block ×5, first 2 shown]
	v_and_b32_e32 v2, 0xffff, v2
	v_and_b32_e32 v3, 0xffff, v3
	;; [unrolled: 1-line block ×3, first 2 shown]
	v_add_lshl_u32 v7, v44, v0, 4
	v_and_b32_e32 v4, 0xffff, v4
	v_add_lshl_u32 v5, v44, v5, 4
	v_add_lshl_u32 v2, v44, v2, 4
	;; [unrolled: 1-line block ×3, first 2 shown]
	v_mad_u64_u32 v[0:1], null, v16, 48, s[2:3]
	s_barrier
	buffer_gl0_inv
	v_and_b32_e32 v14, 0xffff, v14
	v_mad_u16 v13, 0xcc, v15, v13
	v_fma_f64 v[98:99], v[98:99], -0.5, v[45:46]
	v_fma_f64 v[100:101], v[100:101], -0.5, v[47:48]
	v_add_f64 v[45:46], v[114:115], v[81:82]
	v_add_f64 v[47:48], v[79:80], v[83:84]
	v_mul_u32_u24_e32 v14, 0xcc, v14
	v_and_b32_e32 v13, 0xffff, v13
	v_fma_f64 v[102:103], v[102:103], -0.5, v[49:50]
	v_fma_f64 v[104:105], v[104:105], -0.5, v[51:52]
	v_add_f64 v[49:50], v[118:119], v[89:90]
	v_add_f64 v[51:52], v[120:121], v[96:97]
	v_fma_f64 v[106:107], v[106:107], -0.5, v[53:54]
	v_add_f64 v[53:54], v[122:123], v[65:66]
	v_fma_f64 v[108:109], v[108:109], -0.5, v[55:56]
	v_add_f64 v[55:56], v[124:125], v[67:68]
	v_add_nc_u32_e32 v14, v14, v16
	v_fma_f64 v[110:111], v[110:111], -0.5, v[57:58]
	v_fma_f64 v[112:113], v[112:113], -0.5, v[59:60]
	v_add_f64 v[57:58], v[126:127], v[73:74]
	v_add_f64 v[59:60], v[128:129], v[75:76]
	v_add_lshl_u32 v14, v44, v14, 4
	v_fma_f64 v[65:66], v[116:117], s[10:11], v[98:99]
	v_fma_f64 v[67:68], v[77:78], s[8:9], v[100:101]
	;; [unrolled: 1-line block ×4, first 2 shown]
	ds_store_b128 v7, v[45:48]
	ds_store_b128 v7, v[61:64] offset:272
	v_fma_f64 v[73:74], v[87:88], s[10:11], v[102:103]
	v_fma_f64 v[75:76], v[85:86], s[8:9], v[104:105]
	;; [unrolled: 1-line block ×12, first 2 shown]
	scratch_store_b32 off, v7, off offset:388 ; 4-byte Folded Spill
	ds_store_b128 v7, v[65:68] offset:544
	ds_store_b128 v5, v[49:52]
	ds_store_b128 v5, v[69:72] offset:272
	scratch_store_b32 off, v5, off offset:380 ; 4-byte Folded Spill
	ds_store_b128 v5, v[73:76] offset:544
	ds_store_b128 v2, v[53:56]
	ds_store_b128 v2, v[77:80] offset:272
	;; [unrolled: 4-line block ×3, first 2 shown]
	ds_store_b128 v194, v[96:99] offset:544
	v_add_co_u32 v2, s0, s2, v4
	s_delay_alu instid0(VALU_DEP_1)
	v_add_co_ci_u32_e64 v3, null, s3, 0, s0
	s_waitcnt lgkmcnt(0)
	s_waitcnt_vscnt null, 0x0
	s_barrier
	buffer_gl0_inv
	s_clause 0x8
	global_load_b128 v[37:40], v[9:10], off offset:544
	global_load_b128 v[33:36], v[9:10], off offset:560
	;; [unrolled: 1-line block ×9, first 2 shown]
	ds_load_b128 v[0:3], v192 offset:4896
	ds_load_b128 v[4:7], v192 offset:9792
	;; [unrolled: 1-line block ×10, first 2 shown]
	v_cmp_lt_u16_e64 s0, 50, v250
	s_waitcnt vmcnt(8) lgkmcnt(9)
	v_mul_f64 v[116:117], v[0:1], v[39:40]
	s_waitcnt vmcnt(7) lgkmcnt(8)
	v_mul_f64 v[120:121], v[4:5], v[35:36]
	;; [unrolled: 2-line block ×4, first 2 shown]
	v_mul_f64 v[128:129], v[84:85], v[23:24]
	s_waitcnt vmcnt(4) lgkmcnt(5)
	v_mul_f64 v[130:131], v[90:91], v[31:32]
	v_mul_f64 v[132:133], v[88:89], v[31:32]
	s_waitcnt vmcnt(3) lgkmcnt(4)
	v_mul_f64 v[134:135], v[98:99], v[19:20]
	;; [unrolled: 3-line block ×5, first 2 shown]
	v_mul_f64 v[148:149], v[108:109], v[49:50]
	v_mul_f64 v[45:46], v[2:3], v[39:40]
	v_mul_f64 v[118:119], v[6:7], v[35:36]
	v_mul_f64 v[122:123], v[10:11], v[27:28]
	s_clause 0x8
	scratch_store_b128 off, v[37:40], off offset:260
	scratch_store_b128 off, v[33:36], off offset:244
	;; [unrolled: 1-line block ×9, first 2 shown]
	v_fma_f64 v[116:117], v[2:3], v[37:38], v[116:117]
	v_fma_f64 v[120:121], v[6:7], v[33:34], v[120:121]
	;; [unrolled: 1-line block ×3, first 2 shown]
	v_fma_f64 v[84:85], v[84:85], v[21:22], -v[126:127]
	v_fma_f64 v[86:87], v[86:87], v[21:22], v[128:129]
	v_fma_f64 v[88:89], v[88:89], v[29:30], -v[130:131]
	v_fma_f64 v[90:91], v[90:91], v[29:30], v[132:133]
	;; [unrolled: 2-line block ×6, first 2 shown]
	v_fma_f64 v[45:46], v[0:1], v[37:38], -v[45:46]
	v_fma_f64 v[118:119], v[4:5], v[33:34], -v[118:119]
	;; [unrolled: 1-line block ×3, first 2 shown]
	ds_load_b128 v[0:3], v192
	ds_load_b128 v[4:7], v192 offset:1632
	v_cndmask_b32_e64 v17, 0, 0xcc, s0
	s_waitcnt lgkmcnt(0)
	s_waitcnt_vscnt null, 0x0
	s_barrier
	buffer_gl0_inv
	v_add_nc_u32_e32 v12, v12, v17
	s_delay_alu instid0(VALU_DEP_1)
	v_add_lshl_u32 v15, v44, v12, 4
	v_add_lshl_u32 v12, v44, v13, 4
	v_add_f64 v[120:121], v[2:3], -v[120:121]
	v_add_f64 v[10:11], v[116:117], -v[10:11]
	;; [unrolled: 1-line block ×12, first 2 shown]
	v_fma_f64 v[110:111], v[2:3], 2.0, -v[120:121]
	v_fma_f64 v[98:99], v[116:117], 2.0, -v[10:11]
	;; [unrolled: 1-line block ×6, first 2 shown]
	v_add_f64 v[4:5], v[122:123], -v[90:91]
	v_fma_f64 v[132:133], v[112:113], 2.0, -v[126:127]
	v_fma_f64 v[134:135], v[114:115], 2.0, -v[128:129]
	;; [unrolled: 1-line block ×4, first 2 shown]
	v_add_f64 v[90:91], v[128:129], v[104:105]
	v_fma_f64 v[106:107], v[0:1], 2.0, -v[118:119]
	v_fma_f64 v[45:46], v[45:46], 2.0, -v[8:9]
	v_add_f64 v[0:1], v[118:119], -v[10:11]
	v_add_f64 v[2:3], v[120:121], v[8:9]
	v_add_f64 v[10:11], v[110:111], -v[98:99]
	v_add_f64 v[84:85], v[116:117], -v[6:7]
	;; [unrolled: 1-line block ×3, first 2 shown]
	v_add_f64 v[6:7], v[124:125], v[88:89]
	v_add_f64 v[88:89], v[126:127], -v[96:97]
	v_fma_f64 v[104:105], v[122:123], 2.0, -v[4:5]
	v_add_f64 v[96:97], v[132:133], -v[100:101]
	v_add_f64 v[98:99], v[134:135], -v[102:103]
	;; [unrolled: 1-line block ×3, first 2 shown]
	v_fma_f64 v[100:101], v[118:119], 2.0, -v[0:1]
	v_fma_f64 v[102:103], v[120:121], 2.0, -v[2:3]
	;; [unrolled: 1-line block ×3, first 2 shown]
	v_mad_u64_u32 v[45:46], null, 0x50, v250, s[2:3]
	v_fma_f64 v[110:111], v[110:111], 2.0, -v[10:11]
	v_fma_f64 v[112:113], v[116:117], 2.0, -v[84:85]
	;; [unrolled: 1-line block ×8, first 2 shown]
	ds_store_b128 v15, v[8:11] offset:1632
	ds_store_b128 v15, v[0:3] offset:2448
	ds_store_b128 v15, v[108:111]
	scratch_store_b32 off, v15, off offset:412 ; 4-byte Folded Spill
	ds_store_b128 v15, v[100:103] offset:816
	ds_store_b128 v14, v[112:115]
	ds_store_b128 v14, v[104:107] offset:816
	ds_store_b128 v14, v[84:87] offset:1632
	scratch_store_b32 off, v14, off offset:404 ; 4-byte Folded Spill
	ds_store_b128 v14, v[4:7] offset:2448
	ds_store_b128 v12, v[120:123]
	ds_store_b128 v12, v[116:119] offset:816
	ds_store_b128 v12, v[96:99] offset:1632
	scratch_store_b32 off, v12, off offset:396 ; 4-byte Folded Spill
	ds_store_b128 v12, v[88:91] offset:2448
	s_waitcnt lgkmcnt(0)
	s_waitcnt_vscnt null, 0x0
	s_barrier
	buffer_gl0_inv
	global_load_b128 v[12:15], v[45:46], off offset:3024
	v_add_co_u32 v0, s0, 0x1fe0, v45
	s_delay_alu instid0(VALU_DEP_1)
	v_add_co_ci_u32_e64 v1, s0, 0, v46, s0
	s_clause 0x8
	global_load_b128 v[120:123], v[45:46], off offset:3056
	global_load_b128 v[116:119], v[0:1], off offset:3024
	;; [unrolled: 1-line block ×9, first 2 shown]
	ds_load_b128 v[0:3], v192 offset:9792
	ds_load_b128 v[4:7], v192 offset:16320
	;; [unrolled: 1-line block ×6, first 2 shown]
	s_waitcnt vmcnt(8) lgkmcnt(4)
	v_mul_f64 v[140:141], v[4:5], v[122:123]
	v_mul_f64 v[136:137], v[2:3], v[14:15]
	;; [unrolled: 1-line block ×4, first 2 shown]
	s_waitcnt vmcnt(7) lgkmcnt(3)
	v_mul_f64 v[144:145], v[10:11], v[118:119]
	v_mul_f64 v[146:147], v[8:9], v[118:119]
	s_waitcnt vmcnt(6) lgkmcnt(2)
	v_mul_f64 v[148:149], v[44:45], v[126:127]
	v_mul_f64 v[150:151], v[46:47], v[126:127]
	;; [unrolled: 3-line block ×3, first 2 shown]
	scratch_store_b128 off, v[12:15], off offset:324 ; 16-byte Folded Spill
	s_waitcnt vmcnt(4) lgkmcnt(0)
	v_mul_f64 v[156:157], v[134:135], v[18:19]
	v_mul_f64 v[158:159], v[132:133], v[18:19]
	v_fma_f64 v[140:141], v[6:7], v[120:121], v[140:141]
	v_fma_f64 v[136:137], v[0:1], v[12:13], -v[136:137]
	v_fma_f64 v[138:139], v[2:3], v[12:13], v[138:139]
	v_fma_f64 v[142:143], v[4:5], v[120:121], -v[142:143]
	v_fma_f64 v[144:145], v[8:9], v[116:117], -v[144:145]
	v_fma_f64 v[146:147], v[10:11], v[116:117], v[146:147]
	v_fma_f64 v[148:149], v[46:47], v[124:125], v[148:149]
	v_fma_f64 v[150:151], v[44:45], v[124:125], -v[150:151]
	ds_load_b128 v[0:3], v192 offset:6528
	ds_load_b128 v[4:7], v192 offset:13056
	;; [unrolled: 1-line block ×4, first 2 shown]
	v_fma_f64 v[128:129], v[128:129], v[104:105], -v[152:153]
	v_fma_f64 v[130:131], v[130:131], v[104:105], v[154:155]
	v_fma_f64 v[132:133], v[132:133], v[16:17], -v[156:157]
	v_fma_f64 v[134:135], v[134:135], v[16:17], v[158:159]
	scratch_store_b128 off, v[16:19], off offset:340 ; 16-byte Folded Spill
	s_waitcnt vmcnt(1)
	scratch_store_b128 off, v[20:23], off offset:356 ; 16-byte Folded Spill
	s_waitcnt lgkmcnt(3)
	v_mul_f64 v[160:161], v[2:3], v[114:115]
	v_mul_f64 v[162:163], v[0:1], v[114:115]
	s_waitcnt lgkmcnt(2)
	v_mul_f64 v[164:165], v[6:7], v[110:111]
	v_mul_f64 v[166:167], v[4:5], v[110:111]
	s_waitcnt lgkmcnt(1)
	v_mul_f64 v[168:169], v[10:11], v[22:23]
	s_waitcnt vmcnt(0) lgkmcnt(0)
	v_mul_f64 v[170:171], v[46:47], v[102:103]
	v_mul_f64 v[172:173], v[8:9], v[22:23]
	;; [unrolled: 1-line block ×3, first 2 shown]
	v_add_f64 v[152:153], v[138:139], v[140:141]
	v_add_f64 v[154:155], v[136:137], v[142:143]
	;; [unrolled: 1-line block ×4, first 2 shown]
	v_fma_f64 v[160:161], v[0:1], v[112:113], -v[160:161]
	v_fma_f64 v[162:163], v[2:3], v[112:113], v[162:163]
	v_fma_f64 v[164:165], v[4:5], v[108:109], -v[164:165]
	v_fma_f64 v[166:167], v[6:7], v[108:109], v[166:167]
	v_add_f64 v[0:1], v[138:139], -v[140:141]
	v_add_f64 v[2:3], v[136:137], -v[142:143]
	v_fma_f64 v[8:9], v[8:9], v[20:21], -v[168:169]
	v_fma_f64 v[44:45], v[44:45], v[100:101], -v[170:171]
	v_fma_f64 v[10:11], v[10:11], v[20:21], v[172:173]
	v_fma_f64 v[46:47], v[46:47], v[100:101], v[174:175]
	v_fma_f64 v[4:5], v[152:153], -0.5, v[130:131]
	v_fma_f64 v[6:7], v[154:155], -0.5, v[128:129]
	v_add_f64 v[152:153], v[146:147], -v[148:149]
	v_add_f64 v[154:155], v[144:145], -v[150:151]
	v_fma_f64 v[156:157], v[156:157], -0.5, v[134:135]
	v_fma_f64 v[158:159], v[158:159], -0.5, v[132:133]
	v_add_f64 v[128:129], v[128:129], v[136:137]
	v_add_f64 v[130:131], v[130:131], v[138:139]
	;; [unrolled: 1-line block ×6, first 2 shown]
	v_add_f64 v[144:145], v[160:161], -v[164:165]
	v_add_f64 v[172:173], v[8:9], v[44:45]
	v_add_f64 v[182:183], v[10:11], v[46:47]
	v_fma_f64 v[174:175], v[2:3], s[10:11], v[4:5]
	v_fma_f64 v[176:177], v[0:1], s[10:11], v[6:7]
	;; [unrolled: 1-line block ×4, first 2 shown]
	ds_load_b128 v[0:3], v192
	ds_load_b128 v[4:7], v192 offset:1632
	v_fma_f64 v[184:185], v[154:155], s[10:11], v[156:157]
	v_fma_f64 v[186:187], v[152:153], s[8:9], v[158:159]
	;; [unrolled: 1-line block ×4, first 2 shown]
	v_add_f64 v[158:159], v[162:163], -v[166:167]
	v_add_f64 v[128:129], v[128:129], v[142:143]
	v_add_f64 v[130:131], v[130:131], v[140:141]
	s_waitcnt lgkmcnt(1)
	v_add_f64 v[156:157], v[0:1], v[160:161]
	v_add_f64 v[162:163], v[2:3], v[162:163]
	s_waitcnt lgkmcnt(0)
	v_add_f64 v[136:137], v[4:5], v[8:9]
	v_add_f64 v[138:139], v[6:7], v[10:11]
	v_fma_f64 v[0:1], v[168:169], -0.5, v[0:1]
	v_fma_f64 v[2:3], v[170:171], -0.5, v[2:3]
	v_add_f64 v[10:11], v[10:11], -v[46:47]
	v_add_f64 v[8:9], v[8:9], -v[44:45]
	v_fma_f64 v[4:5], v[172:173], -0.5, v[4:5]
	v_fma_f64 v[6:7], v[182:183], -0.5, v[6:7]
	v_mul_f64 v[146:147], v[174:175], s[8:9]
	v_mul_f64 v[160:161], v[176:177], -0.5
	v_mul_f64 v[168:169], v[178:179], s[10:11]
	v_mul_f64 v[170:171], v[180:181], -0.5
	v_mul_f64 v[172:173], v[184:185], s[8:9]
	v_mul_f64 v[182:183], v[186:187], s[10:11]
	v_mul_f64 v[188:189], v[152:153], -0.5
	v_mul_f64 v[190:191], v[154:155], -0.5
	v_add_f64 v[156:157], v[156:157], v[164:165]
	v_add_f64 v[162:163], v[162:163], v[166:167]
	;; [unrolled: 1-line block ×6, first 2 shown]
	v_fma_f64 v[148:149], v[158:159], s[8:9], v[0:1]
	v_fma_f64 v[0:1], v[158:159], s[10:11], v[0:1]
	;; [unrolled: 1-line block ×8, first 2 shown]
	v_fma_f64 v[144:145], v[178:179], 0.5, v[146:147]
	v_fma_f64 v[146:147], v[180:181], s[8:9], v[160:161]
	v_fma_f64 v[158:159], v[174:175], 0.5, v[168:169]
	v_fma_f64 v[176:177], v[176:177], s[10:11], v[170:171]
	v_fma_f64 v[8:9], v[186:187], 0.5, v[172:173]
	v_fma_f64 v[178:179], v[184:185], 0.5, v[182:183]
	v_fma_f64 v[180:181], v[154:155], s[8:9], v[188:189]
	v_fma_f64 v[182:183], v[152:153], s[10:11], v[190:191]
	v_add_f64 v[132:133], v[156:157], v[128:129]
	v_add_f64 v[164:165], v[156:157], -v[128:129]
	v_add_f64 v[134:135], v[162:163], v[130:131]
	v_add_f64 v[166:167], v[162:163], -v[130:131]
	v_add_f64 v[152:153], v[44:45], v[136:137]
	v_add_f64 v[154:155], v[46:47], v[138:139]
	v_add_f64 v[140:141], v[44:45], -v[136:137]
	v_add_f64 v[142:143], v[46:47], -v[138:139]
	v_add_f64 v[172:173], v[148:149], v[144:145]
	v_add_f64 v[168:169], v[0:1], v[146:147]
	v_add_f64 v[156:157], v[0:1], -v[146:147]
	scratch_load_b32 v0, off, off           ; 4-byte Folded Reload
	v_add_f64 v[174:175], v[150:151], v[158:159]
	v_add_f64 v[170:171], v[2:3], v[176:177]
	v_add_f64 v[160:161], v[148:149], -v[144:145]
	v_add_f64 v[162:163], v[150:151], -v[158:159]
	v_add_f64 v[148:149], v[195:196], v[8:9]
	v_add_f64 v[150:151], v[10:11], v[178:179]
	;; [unrolled: 1-line block ×4, first 2 shown]
	v_add_f64 v[158:159], v[2:3], -v[176:177]
	v_add_f64 v[136:137], v[195:196], -v[8:9]
	;; [unrolled: 1-line block ×5, first 2 shown]
	s_waitcnt vmcnt(0)
	v_lshl_add_u32 v193, v250, 4, v0
	v_lshl_add_u32 v255, v250, 4, v0
	ds_store_b128 v193, v[132:135]
	ds_store_b128 v255, v[172:175] offset:3264
	ds_store_b128 v255, v[152:155] offset:1632
	;; [unrolled: 1-line block ×11, first 2 shown]
	s_waitcnt lgkmcnt(0)
	s_waitcnt_vscnt null, 0x0
	s_barrier
	buffer_gl0_inv
	s_and_saveexec_b32 s2, vcc_lo
	s_cbranch_execz .LBB0_9
; %bb.8:
	s_add_u32 s0, s12, 0x4c80
	s_addc_u32 s1, s13, 0
	v_or_b32_e32 v4, 0x4800, v248
	s_clause 0x3
	global_load_b128 v[176:179], v248, s[0:1]
	global_load_b128 v[180:183], v248, s[0:1] offset:1152
	global_load_b128 v[184:187], v248, s[0:1] offset:2304
	;; [unrolled: 1-line block ×3, first 2 shown]
	ds_load_b128 v[0:3], v193
	global_load_b128 v[4:7], v4, s[0:1]
	v_add_co_u32 v12, s0, s0, v248
	s_delay_alu instid0(VALU_DEP_1) | instskip(NEXT) | instid1(VALU_DEP_2)
	v_add_co_ci_u32_e64 v13, null, s1, 0, s0
	v_add_co_u32 v195, s0, 0x1000, v12
	s_delay_alu instid0(VALU_DEP_1) | instskip(SKIP_3) | instid1(VALU_DEP_2)
	v_add_co_ci_u32_e64 v196, s0, 0, v13, s0
	s_waitcnt vmcnt(4) lgkmcnt(0)
	v_mul_f64 v[8:9], v[2:3], v[178:179]
	v_mul_f64 v[10:11], v[0:1], v[178:179]
	v_fma_f64 v[0:1], v[0:1], v[176:177], -v[8:9]
	s_delay_alu instid0(VALU_DEP_2)
	v_fma_f64 v[2:3], v[2:3], v[176:177], v[10:11]
	ds_store_b128 v193, v[0:3]
	ds_load_b128 v[0:3], v255 offset:1152
	ds_load_b128 v[8:11], v255 offset:2304
	;; [unrolled: 1-line block ×3, first 2 shown]
	s_waitcnt vmcnt(3) lgkmcnt(2)
	v_mul_f64 v[44:45], v[2:3], v[182:183]
	v_mul_f64 v[46:47], v[0:1], v[182:183]
	s_waitcnt vmcnt(2) lgkmcnt(1)
	v_mul_f64 v[182:183], v[10:11], v[186:187]
	v_mul_f64 v[186:187], v[8:9], v[186:187]
	s_delay_alu instid0(VALU_DEP_4) | instskip(NEXT) | instid1(VALU_DEP_4)
	v_fma_f64 v[0:1], v[0:1], v[180:181], -v[44:45]
	v_fma_f64 v[2:3], v[2:3], v[180:181], v[46:47]
	global_load_b128 v[44:47], v[195:196], off offset:512
	v_fma_f64 v[8:9], v[8:9], v[184:185], -v[182:183]
	v_fma_f64 v[10:11], v[10:11], v[184:185], v[186:187]
	ds_load_b128 v[180:183], v255 offset:4608
	s_waitcnt vmcnt(2) lgkmcnt(1)
	v_mul_f64 v[184:185], v[178:179], v[190:191]
	v_mul_f64 v[186:187], v[176:177], v[190:191]
	s_delay_alu instid0(VALU_DEP_2) | instskip(NEXT) | instid1(VALU_DEP_2)
	v_fma_f64 v[176:177], v[176:177], v[188:189], -v[184:185]
	v_fma_f64 v[178:179], v[178:179], v[188:189], v[186:187]
	global_load_b128 v[184:187], v[195:196], off offset:1664
	s_waitcnt vmcnt(1) lgkmcnt(0)
	v_mul_f64 v[188:189], v[182:183], v[46:47]
	v_mul_f64 v[46:47], v[180:181], v[46:47]
	s_delay_alu instid0(VALU_DEP_2) | instskip(NEXT) | instid1(VALU_DEP_2)
	v_fma_f64 v[180:181], v[180:181], v[44:45], -v[188:189]
	v_fma_f64 v[182:183], v[182:183], v[44:45], v[46:47]
	ds_load_b128 v[44:47], v255 offset:5760
	ds_load_b128 v[188:191], v255 offset:6912
	s_waitcnt vmcnt(0) lgkmcnt(1)
	v_mul_f64 v[197:198], v[46:47], v[186:187]
	v_mul_f64 v[186:187], v[44:45], v[186:187]
	s_delay_alu instid0(VALU_DEP_2) | instskip(NEXT) | instid1(VALU_DEP_2)
	v_fma_f64 v[44:45], v[44:45], v[184:185], -v[197:198]
	v_fma_f64 v[46:47], v[46:47], v[184:185], v[186:187]
	s_clause 0x1
	global_load_b128 v[184:187], v[195:196], off offset:2816
	global_load_b128 v[195:198], v[195:196], off offset:3968
	s_waitcnt vmcnt(1) lgkmcnt(0)
	v_mul_f64 v[199:200], v[190:191], v[186:187]
	v_mul_f64 v[201:202], v[188:189], v[186:187]
	s_delay_alu instid0(VALU_DEP_2) | instskip(NEXT) | instid1(VALU_DEP_2)
	v_fma_f64 v[186:187], v[188:189], v[184:185], -v[199:200]
	v_fma_f64 v[188:189], v[190:191], v[184:185], v[201:202]
	ds_load_b128 v[199:202], v255 offset:8064
	ds_load_b128 v[203:206], v255 offset:9216
	s_waitcnt vmcnt(0) lgkmcnt(1)
	v_mul_f64 v[184:185], v[201:202], v[197:198]
	v_mul_f64 v[190:191], v[199:200], v[197:198]
	s_delay_alu instid0(VALU_DEP_2) | instskip(SKIP_1) | instid1(VALU_DEP_1)
	v_fma_f64 v[197:198], v[199:200], v[195:196], -v[184:185]
	v_add_co_u32 v184, s0, 0x2000, v12
	v_add_co_ci_u32_e64 v185, s0, 0, v13, s0
	s_clause 0x1
	global_load_b128 v[207:210], v[184:185], off offset:1024
	global_load_b128 v[211:214], v[184:185], off offset:2176
	v_fma_f64 v[199:200], v[201:202], v[195:196], v[190:191]
	s_waitcnt vmcnt(1) lgkmcnt(0)
	v_mul_f64 v[190:191], v[205:206], v[209:210]
	v_mul_f64 v[195:196], v[203:204], v[209:210]
	s_delay_alu instid0(VALU_DEP_2) | instskip(NEXT) | instid1(VALU_DEP_2)
	v_fma_f64 v[201:202], v[203:204], v[207:208], -v[190:191]
	v_fma_f64 v[203:204], v[205:206], v[207:208], v[195:196]
	ds_load_b128 v[205:208], v255 offset:10368
	ds_load_b128 v[215:218], v255 offset:11520
	s_waitcnt vmcnt(0) lgkmcnt(1)
	v_mul_f64 v[190:191], v[207:208], v[213:214]
	v_mul_f64 v[195:196], v[205:206], v[213:214]
	s_delay_alu instid0(VALU_DEP_2) | instskip(SKIP_1) | instid1(VALU_DEP_1)
	v_fma_f64 v[205:206], v[205:206], v[211:212], -v[190:191]
	v_add_co_u32 v190, s0, 0x3000, v12
	v_add_co_ci_u32_e64 v191, s0, 0, v13, s0
	s_delay_alu instid0(VALU_DEP_4)
	v_fma_f64 v[207:208], v[207:208], v[211:212], v[195:196]
	s_clause 0x1
	global_load_b128 v[209:212], v[184:185], off offset:3328
	global_load_b128 v[219:222], v[190:191], off offset:384
	s_waitcnt vmcnt(1) lgkmcnt(0)
	v_mul_f64 v[184:185], v[217:218], v[211:212]
	v_mul_f64 v[195:196], v[215:216], v[211:212]
	s_delay_alu instid0(VALU_DEP_2) | instskip(NEXT) | instid1(VALU_DEP_2)
	v_fma_f64 v[211:212], v[215:216], v[209:210], -v[184:185]
	v_fma_f64 v[213:214], v[217:218], v[209:210], v[195:196]
	ds_load_b128 v[215:218], v255 offset:12672
	ds_load_b128 v[223:226], v255 offset:13824
	s_waitcnt vmcnt(0) lgkmcnt(1)
	v_mul_f64 v[184:185], v[217:218], v[221:222]
	v_mul_f64 v[195:196], v[215:216], v[221:222]
	s_delay_alu instid0(VALU_DEP_2) | instskip(NEXT) | instid1(VALU_DEP_2)
	v_fma_f64 v[215:216], v[215:216], v[219:220], -v[184:185]
	v_fma_f64 v[217:218], v[217:218], v[219:220], v[195:196]
	s_clause 0x1
	global_load_b128 v[219:222], v[190:191], off offset:1536
	global_load_b128 v[227:230], v[190:191], off offset:2688
	ds_load_b128 v[231:234], v255 offset:14976
	ds_load_b128 v[235:238], v255 offset:16128
	s_waitcnt vmcnt(1) lgkmcnt(2)
	v_mul_f64 v[184:185], v[225:226], v[221:222]
	v_mul_f64 v[195:196], v[223:224], v[221:222]
	s_delay_alu instid0(VALU_DEP_2) | instskip(SKIP_2) | instid1(VALU_DEP_3)
	v_fma_f64 v[221:222], v[223:224], v[219:220], -v[184:185]
	s_waitcnt vmcnt(0) lgkmcnt(1)
	v_mul_f64 v[184:185], v[233:234], v[229:230]
	v_fma_f64 v[223:224], v[225:226], v[219:220], v[195:196]
	v_mul_f64 v[195:196], v[231:232], v[229:230]
	s_delay_alu instid0(VALU_DEP_3) | instskip(SKIP_1) | instid1(VALU_DEP_1)
	v_fma_f64 v[225:226], v[231:232], v[227:228], -v[184:185]
	v_add_co_u32 v184, s0, 0x4000, v12
	v_add_co_ci_u32_e64 v185, s0, 0, v13, s0
	s_clause 0x1
	global_load_b128 v[229:232], v[190:191], off offset:3840
	global_load_b128 v[239:242], v[184:185], off offset:896
	v_fma_f64 v[227:228], v[233:234], v[227:228], v[195:196]
	s_waitcnt vmcnt(1) lgkmcnt(0)
	v_mul_f64 v[184:185], v[237:238], v[231:232]
	v_mul_f64 v[190:191], v[235:236], v[231:232]
	s_delay_alu instid0(VALU_DEP_2) | instskip(NEXT) | instid1(VALU_DEP_2)
	v_fma_f64 v[231:232], v[235:236], v[229:230], -v[184:185]
	v_fma_f64 v[233:234], v[237:238], v[229:230], v[190:191]
	ds_load_b128 v[235:238], v255 offset:17280
	ds_load_b128 v[243:246], v255 offset:18432
	s_waitcnt vmcnt(0) lgkmcnt(1)
	v_mul_f64 v[184:185], v[237:238], v[241:242]
	v_mul_f64 v[190:191], v[235:236], v[241:242]
	s_delay_alu instid0(VALU_DEP_2) | instskip(SKIP_3) | instid1(VALU_DEP_4)
	v_fma_f64 v[235:236], v[235:236], v[239:240], -v[184:185]
	s_waitcnt lgkmcnt(0)
	v_mul_f64 v[184:185], v[245:246], v[6:7]
	v_mul_f64 v[6:7], v[243:244], v[6:7]
	v_fma_f64 v[237:238], v[237:238], v[239:240], v[190:191]
	s_delay_alu instid0(VALU_DEP_3) | instskip(NEXT) | instid1(VALU_DEP_3)
	v_fma_f64 v[239:240], v[243:244], v[4:5], -v[184:185]
	v_fma_f64 v[241:242], v[245:246], v[4:5], v[6:7]
	ds_store_b128 v255, v[0:3] offset:1152
	ds_store_b128 v255, v[8:11] offset:2304
	;; [unrolled: 1-line block ×16, first 2 shown]
.LBB0_9:
	s_or_b32 exec_lo, exec_lo, s2
	s_waitcnt lgkmcnt(0)
	s_barrier
	buffer_gl0_inv
	s_and_saveexec_b32 s0, vcc_lo
	s_cbranch_execz .LBB0_11
; %bb.10:
	ds_load_b128 v[132:135], v193
	ds_load_b128 v[172:175], v193 offset:1152
	ds_load_b128 v[168:171], v193 offset:2304
	;; [unrolled: 1-line block ×14, first 2 shown]
	s_waitcnt lgkmcnt(1)
	scratch_store_b128 off, v[0:3], off offset:36 ; 16-byte Folded Spill
	ds_load_b128 v[0:3], v193 offset:16128
	s_waitcnt lgkmcnt(0)
	scratch_store_b128 off, v[0:3], off offset:20 ; 16-byte Folded Spill
	ds_load_b128 v[0:3], v193 offset:17280
	s_waitcnt lgkmcnt(0)
	scratch_store_b128 off, v[0:3], off offset:4 ; 16-byte Folded Spill
.LBB0_11:
	s_or_b32 exec_lo, exec_lo, s0
	v_add_nc_u32_e32 v176, 0x660, v255
	s_waitcnt_vscnt null, 0x0
	s_barrier
	buffer_gl0_inv
	s_and_saveexec_b32 s33, vcc_lo
	s_cbranch_execz .LBB0_13
; %bb.12:
	s_clause 0x2
	scratch_load_b128 v[209:212], off, off offset:4
	scratch_load_b128 v[201:204], off, off offset:20
	;; [unrolled: 1-line block ×3, first 2 shown]
	v_add_f64 v[239:240], v[172:173], -v[92:93]
	v_add_f64 v[237:238], v[174:175], -v[94:95]
	s_mov_b32 s22, 0xacd6c6b4
	s_mov_b32 s23, 0xbfc7851a
	v_add_f64 v[229:230], v[94:95], v[174:175]
	v_add_f64 v[231:232], v[92:93], v[172:173]
	v_dual_mov_b32 v29, v17 :: v_dual_mov_b32 v28, v16
	v_dual_mov_b32 v27, v15 :: v_dual_mov_b32 v26, v14
	s_mov_b32 s28, 0x4363dd80
	s_mov_b32 s26, 0x5d8e7cdc
	;; [unrolled: 1-line block ×6, first 2 shown]
	v_add_f64 v[40:41], v[144:145], -v[140:141]
	v_add_f64 v[10:11], v[152:153], -v[14:15]
	v_add_f64 v[186:187], v[16:17], v[154:155]
	s_clause 0x1
	scratch_store_b128 off, v[100:103], off offset:420
	scratch_store_b128 off, v[26:29], off offset:628
	v_add_f64 v[16:17], v[146:147], -v[142:143]
	v_add_f64 v[190:191], v[26:27], v[152:153]
	v_add_f64 v[4:5], v[148:149], -v[136:137]
	v_dual_mov_b32 v100, v251 :: v_dual_mov_b32 v101, v252
	s_mov_b32 s54, 0xeb564b22
	s_mov_b32 s42, 0x923c349f
	;; [unrolled: 1-line block ×12, first 2 shown]
	v_mul_f64 v[0:1], v[239:240], s[22:23]
	v_mul_f64 v[2:3], v[237:238], s[22:23]
	;; [unrolled: 1-line block ×4, first 2 shown]
	v_add_f64 v[215:216], v[156:157], -v[100:101]
	v_add_f64 v[88:89], v[150:151], -v[138:139]
	;; [unrolled: 1-line block ×3, first 2 shown]
	v_mul_f64 v[188:189], v[239:240], s[36:37]
	v_mul_f64 v[12:13], v[237:238], s[36:37]
	;; [unrolled: 1-line block ×3, first 2 shown]
	s_mov_b32 s20, 0x2b2883cd
	s_mov_b32 s16, 0x6ed5f1bb
	;; [unrolled: 1-line block ×6, first 2 shown]
	v_mul_f64 v[130:131], v[40:41], s[54:55]
	s_mov_b32 s39, 0xbfd71e95
	s_mov_b32 s51, 0x3fe9895b
	;; [unrolled: 1-line block ×6, first 2 shown]
	v_dual_mov_b32 v61, v5 :: v_dual_mov_b32 v60, v4
	s_mov_b32 s50, s36
	s_mov_b32 s34, s54
	s_mov_b32 s40, s42
	s_mov_b32 s46, s28
	v_dual_mov_b32 v102, v253 :: v_dual_mov_b32 v103, v254
	v_add_f64 v[46:47], v[134:135], v[174:175]
	v_add_f64 v[251:252], v[132:133], v[172:173]
	v_mul_f64 v[223:224], v[4:5], s[42:43]
	s_clause 0x1
	scratch_store_b32 off, v193, off offset:436
	scratch_store_b32 off, v194, off offset:444
	v_dual_mov_b32 v91, v61 :: v_dual_mov_b32 v90, v60
	s_mov_b32 s10, 0x3259b75e
	v_fma_f64 v[26:27], v[229:230], s[0:1], v[0:1]
	v_fma_f64 v[8:9], v[231:232], s[0:1], -v[2:3]
	v_fma_f64 v[48:49], v[229:230], s[0:1], -v[0:1]
	v_fma_f64 v[44:45], v[231:232], s[0:1], v[2:3]
	v_dual_mov_b32 v2, v10 :: v_dual_mov_b32 v3, v11
	v_mul_f64 v[0:1], v[16:17], s[54:55]
	v_fma_f64 v[16:17], v[229:230], s[8:9], v[38:39]
	v_fma_f64 v[32:33], v[231:232], s[8:9], -v[58:59]
	v_fma_f64 v[38:39], v[229:230], s[8:9], -v[38:39]
	scratch_store_b128 off, v[92:95], off offset:492 ; 16-byte Folded Spill
	v_mul_f64 v[92:93], v[215:216], s[36:37]
	v_mul_f64 v[172:173], v[215:216], s[38:39]
	v_dual_mov_b32 v84, v215 :: v_dual_mov_b32 v85, v216
	v_fma_f64 v[58:59], v[231:232], s[8:9], v[58:59]
	v_fma_f64 v[62:63], v[229:230], s[16:17], v[188:189]
	v_fma_f64 v[66:67], v[231:232], s[16:17], -v[12:13]
	v_fma_f64 v[188:189], v[229:230], s[16:17], -v[188:189]
	v_fma_f64 v[74:75], v[231:232], s[16:17], v[12:13]
	v_fma_f64 v[78:79], v[231:232], s[24:25], -v[20:21]
	s_mov_b32 s18, 0x75d4884
	s_mov_b32 s11, 0x3fb79ee6
	;; [unrolled: 1-line block ×3, first 2 shown]
	v_add_f64 v[195:196], v[102:103], v[158:159]
	v_add_f64 v[96:97], v[158:159], -v[102:103]
	v_mul_f64 v[184:185], v[52:53], s[30:31]
	v_mul_f64 v[227:228], v[52:53], s[22:23]
	s_mov_b32 s49, 0xbfeca52d
	s_mov_b32 s48, s30
	v_add_f64 v[199:200], v[100:101], v[156:157]
	v_add_f64 v[46:47], v[170:171], v[46:47]
	v_mul_f64 v[193:194], v[2:3], s[30:31]
	v_mul_f64 v[253:254], v[2:3], s[22:23]
	v_add_f64 v[182:183], v[148:149], v[136:137]
	v_mul_f64 v[98:99], v[88:89], s[42:43]
	v_mul_f64 v[18:19], v[239:240], s[42:43]
	v_dual_mov_b32 v14, v249 :: v_dual_mov_b32 v15, v250
	v_add_f64 v[24:25], v[134:135], v[26:27]
	v_add_f64 v[36:37], v[132:133], v[8:9]
	v_mul_f64 v[8:9], v[40:41], s[42:43]
	v_add_f64 v[176:177], v[146:147], v[142:143]
	v_add_f64 v[178:179], v[144:145], v[140:141]
	scratch_store_b64 off, v[0:1], off offset:468 ; 8-byte Folded Spill
	v_mul_f64 v[0:1], v[60:61], s[22:23]
	v_add_f64 v[16:17], v[134:135], v[16:17]
	v_add_f64 v[32:33], v[132:133], v[32:33]
	;; [unrolled: 1-line block ×3, first 2 shown]
	s_mov_b32 s53, 0xbfe58eea
	s_mov_b32 s52, s44
	v_add_f64 v[180:181], v[150:151], v[138:139]
	scratch_store_b64 off, v[88:89], off offset:644 ; 8-byte Folded Spill
	v_add_f64 v[58:59], v[132:133], v[58:59]
	v_add_f64 v[62:63], v[134:135], v[62:63]
	;; [unrolled: 1-line block ×5, first 2 shown]
	v_mul_f64 v[174:175], v[96:97], s[38:39]
	v_mul_f64 v[249:250], v[96:97], s[36:37]
	v_fma_f64 v[76:77], v[229:230], s[24:25], v[18:19]
	v_fma_f64 v[82:83], v[229:230], s[24:25], -v[18:19]
	scratch_store_b64 off, v[8:9], off offset:452 ; 8-byte Folded Spill
	v_mul_f64 v[8:9], v[4:5], s[44:45]
	v_mul_f64 v[4:5], v[88:89], s[44:45]
	scratch_store_b64 off, v[0:1], off offset:460 ; 8-byte Folded Spill
	v_add_f64 v[76:77], v[134:135], v[76:77]
	v_add_f64 v[82:83], v[134:135], v[82:83]
	s_clause 0x1
	scratch_store_b64 off, v[8:9], off offset:484
	scratch_store_b64 off, v[4:5], off offset:476
	v_dual_mov_b32 v4, v52 :: v_dual_mov_b32 v5, v53
	v_add_f64 v[52:53], v[132:133], v[44:45]
	v_mul_f64 v[44:45], v[84:85], s[54:55]
	v_dual_mov_b32 v9, v3 :: v_dual_mov_b32 v8, v2
	v_fma_f64 v[2:3], v[231:232], s[24:25], v[20:21]
	v_mul_f64 v[20:21], v[239:240], s[34:35]
	s_delay_alu instid0(VALU_DEP_2)
	v_add_f64 v[2:3], v[132:133], v[2:3]
	s_waitcnt vmcnt(2)
	v_add_f64 v[233:234], v[168:169], -v[209:210]
	v_add_f64 v[235:236], v[170:171], -v[211:212]
	s_waitcnt vmcnt(1)
	v_add_f64 v[56:57], v[164:165], -v[201:202]
	v_add_f64 v[221:222], v[211:212], v[170:171]
	v_add_f64 v[225:226], v[209:210], v[168:169]
	s_waitcnt vmcnt(0)
	v_add_f64 v[197:198], v[160:161], -v[241:242]
	v_add_f64 v[213:214], v[166:167], v[203:204]
	v_add_f64 v[6:7], v[166:167], -v[203:204]
	v_add_f64 v[205:206], v[162:163], v[243:244]
	v_add_f64 v[219:220], v[162:163], -v[243:244]
	v_add_f64 v[217:218], v[164:165], v[201:202]
	v_add_f64 v[207:208], v[160:161], v[241:242]
	v_add_f64 v[168:169], v[168:169], v[251:252]
	;; [unrolled: 1-line block ×3, first 2 shown]
	v_fma_f64 v[46:47], v[229:230], s[10:11], v[20:21]
	v_mul_f64 v[42:43], v[233:234], s[26:27]
	v_mul_f64 v[245:246], v[235:236], s[26:27]
	;; [unrolled: 1-line block ×6, first 2 shown]
	v_dual_mov_b32 v216, v198 :: v_dual_mov_b32 v215, v197
	v_mul_f64 v[50:51], v[56:57], s[34:35]
	v_mul_f64 v[60:61], v[233:234], s[40:41]
	v_mul_f64 v[64:65], v[235:236], s[40:41]
	v_mul_f64 v[70:71], v[235:236], s[46:47]
	v_dual_mov_b32 v87, v7 :: v_dual_mov_b32 v86, v6
	v_mul_f64 v[30:31], v[6:7], s[28:29]
	v_mul_f64 v[54:55], v[219:220], s[50:51]
	scratch_store_b64 off, v[219:220], off offset:612 ; 8-byte Folded Spill
	v_mul_f64 v[26:27], v[219:220], s[44:45]
	v_mul_f64 v[0:1], v[86:87], s[38:39]
	scratch_store_b64 off, v[86:87], off offset:620 ; 8-byte Folded Spill
	v_mul_f64 v[170:171], v[86:87], s[44:45]
	v_add_f64 v[86:87], v[134:135], v[188:189]
	scratch_store_b64 off, v[20:21], off offset:652 ; 8-byte Folded Spill
	v_mul_f64 v[68:69], v[233:234], s[46:47]
	v_mul_f64 v[128:129], v[233:234], s[22:23]
	v_dual_mov_b32 v20, v90 :: v_dual_mov_b32 v21, v91
	v_add_f64 v[168:169], v[164:165], v[168:169]
	v_mul_f64 v[164:165], v[4:5], s[52:53]
	v_fma_f64 v[22:23], v[221:222], s[2:3], v[42:43]
	v_fma_f64 v[34:35], v[225:226], s[2:3], -v[245:246]
	v_fma_f64 v[40:41], v[221:222], s[2:3], -v[42:43]
	v_add_f64 v[42:43], v[134:135], v[48:49]
	v_mul_f64 v[48:49], v[197:198], s[50:51]
	v_dual_mov_b32 v198, v57 :: v_dual_mov_b32 v197, v56
	v_mul_f64 v[56:57], v[6:7], s[34:35]
	v_fma_f64 v[72:73], v[221:222], s[20:21], v[247:248]
	v_fma_f64 v[12:13], v[213:214], s[8:9], v[10:11]
	v_fma_f64 v[80:81], v[225:226], s[20:21], -v[28:29]
	v_fma_f64 v[10:11], v[213:214], s[8:9], -v[10:11]
	v_dual_mov_b32 v6, v84 :: v_dual_mov_b32 v7, v85
	v_fma_f64 v[28:29], v[225:226], s[20:21], v[28:29]
	v_fma_f64 v[251:252], v[221:222], s[24:25], v[60:61]
	v_fma_f64 v[84:85], v[225:226], s[24:25], -v[64:65]
	v_fma_f64 v[60:61], v[221:222], s[24:25], -v[60:61]
	v_fma_f64 v[64:65], v[225:226], s[24:25], v[64:65]
	v_fma_f64 v[245:246], v[225:226], s[2:3], v[245:246]
	v_fma_f64 v[18:19], v[217:218], s[8:9], -v[30:31]
	v_fma_f64 v[30:31], v[217:218], s[8:9], v[30:31]
	v_fma_f64 v[188:189], v[221:222], s[8:9], v[68:69]
	v_fma_f64 v[68:69], v[221:222], s[8:9], -v[68:69]
	v_add_f64 v[24:25], v[22:23], v[24:25]
	v_add_f64 v[34:35], v[34:35], v[36:37]
	v_fma_f64 v[36:37], v[221:222], s[20:21], -v[247:248]
	v_add_f64 v[40:41], v[40:41], v[42:43]
	v_mul_f64 v[247:248], v[197:198], s[38:39]
	v_mul_f64 v[42:43], v[215:216], s[28:29]
	;; [unrolled: 1-line block ×3, first 2 shown]
	v_add_f64 v[72:73], v[72:73], v[16:17]
	v_fma_f64 v[16:17], v[225:226], s[8:9], -v[70:71]
	v_add_f64 v[32:33], v[80:81], v[32:33]
	v_fma_f64 v[80:81], v[207:208], s[18:19], -v[26:27]
	v_fma_f64 v[26:27], v[207:208], s[18:19], v[26:27]
	v_fma_f64 v[70:71], v[225:226], s[8:9], v[70:71]
	v_add_f64 v[28:29], v[28:29], v[58:59]
	v_mul_f64 v[58:59], v[219:220], s[28:29]
	v_add_f64 v[62:63], v[251:252], v[62:63]
	v_add_f64 v[66:67], v[84:85], v[66:67]
	v_fma_f64 v[84:85], v[217:218], s[2:3], -v[0:1]
	v_add_f64 v[60:61], v[60:61], v[86:87]
	v_add_f64 v[64:65], v[64:65], v[74:75]
	v_mul_f64 v[74:75], v[219:220], s[48:49]
	v_fma_f64 v[0:1], v[217:218], s[2:3], v[0:1]
	v_add_f64 v[52:53], v[245:246], v[52:53]
	v_mul_f64 v[245:246], v[197:198], s[44:45]
	v_add_f64 v[68:69], v[68:69], v[82:83]
	v_fma_f64 v[82:83], v[199:200], s[16:17], -v[249:250]
	v_add_f64 v[76:77], v[188:189], v[76:77]
	v_mul_f64 v[86:87], v[215:216], s[48:49]
	v_dual_mov_b32 v220, v9 :: v_dual_mov_b32 v219, v8
	v_fma_f64 v[8:9], v[199:200], s[2:3], v[174:175]
	v_add_f64 v[12:13], v[12:13], v[24:25]
	v_fma_f64 v[24:25], v[205:206], s[18:19], v[94:95]
	v_add_f64 v[38:39], v[36:37], v[38:39]
	v_fma_f64 v[36:37], v[217:218], s[10:11], -v[56:57]
	v_add_f64 v[10:11], v[10:11], v[40:41]
	v_fma_f64 v[94:95], v[205:206], s[18:19], -v[94:95]
	v_fma_f64 v[251:252], v[213:214], s[2:3], v[247:248]
	v_fma_f64 v[247:248], v[213:214], s[2:3], -v[247:248]
	v_add_f64 v[34:35], v[18:19], v[34:35]
	v_add_f64 v[16:17], v[16:17], v[78:79]
	v_fma_f64 v[78:79], v[217:218], s[18:19], -v[170:171]
	v_fma_f64 v[18:19], v[213:214], s[10:11], v[50:51]
	v_fma_f64 v[50:51], v[213:214], s[10:11], -v[50:51]
	v_fma_f64 v[56:57], v[217:218], s[10:11], v[56:57]
	v_mul_f64 v[40:41], v[90:91], s[38:39]
	v_fma_f64 v[90:91], v[199:200], s[16:17], v[249:250]
	v_fma_f64 v[249:250], v[205:206], s[8:9], v[42:43]
	v_fma_f64 v[170:171], v[217:218], s[18:19], v[170:171]
	v_add_f64 v[66:67], v[84:85], v[66:67]
	v_fma_f64 v[84:85], v[207:208], s[8:9], -v[58:59]
	v_fma_f64 v[58:59], v[207:208], s[8:9], v[58:59]
	v_fma_f64 v[42:43], v[205:206], s[8:9], -v[42:43]
	v_add_f64 v[0:1], v[0:1], v[64:65]
	v_add_f64 v[30:31], v[30:31], v[52:53]
	v_fma_f64 v[188:189], v[213:214], s[18:19], v[245:246]
	v_fma_f64 v[245:246], v[213:214], s[18:19], -v[245:246]
	v_mul_f64 v[52:53], v[88:89], s[22:23]
	v_mul_f64 v[64:65], v[96:97], s[22:23]
	v_add_f64 v[24:25], v[24:25], v[12:13]
	v_fma_f64 v[12:13], v[195:196], s[16:17], v[92:93]
	v_add_f64 v[36:37], v[36:37], v[32:33]
	v_fma_f64 v[32:33], v[207:208], s[16:17], -v[54:55]
	v_add_f64 v[94:95], v[94:95], v[10:11]
	v_fma_f64 v[92:93], v[195:196], s[16:17], -v[92:93]
	v_add_f64 v[60:61], v[247:248], v[60:61]
	v_fma_f64 v[247:248], v[186:187], s[20:21], v[193:194]
	v_fma_f64 v[193:194], v[186:187], s[20:21], -v[193:194]
	v_add_f64 v[78:79], v[78:79], v[16:17]
	v_add_f64 v[34:35], v[80:81], v[34:35]
	v_mul_f64 v[80:81], v[96:97], s[54:55]
	v_add_f64 v[72:73], v[18:19], v[72:73]
	v_fma_f64 v[18:19], v[205:206], s[16:17], v[48:49]
	v_add_f64 v[10:11], v[70:71], v[2:3]
	v_add_f64 v[38:39], v[50:51], v[38:39]
	v_fma_f64 v[50:51], v[221:222], s[0:1], v[128:129]
	v_add_f64 v[2:3], v[134:135], v[46:47]
	v_fma_f64 v[48:49], v[205:206], s[16:17], -v[48:49]
	v_fma_f64 v[54:55], v[207:208], s[16:17], v[54:55]
	v_add_f64 v[28:29], v[56:57], v[28:29]
	v_add_f64 v[0:1], v[58:59], v[0:1]
	v_fma_f64 v[58:59], v[182:183], s[24:25], -v[98:99]
	v_add_f64 v[26:27], v[26:27], v[30:31]
	v_add_f64 v[62:63], v[251:252], v[62:63]
	;; [unrolled: 1-line block ×4, first 2 shown]
	v_mov_b32_e32 v246, v7
	v_mul_f64 v[56:57], v[6:7], s[22:23]
	v_dual_mov_b32 v252, v5 :: v_dual_mov_b32 v251, v4
	v_mul_f64 v[46:47], v[88:89], s[38:39]
	v_fma_f64 v[88:89], v[180:181], s[24:25], v[223:224]
	v_mul_f64 v[70:71], v[197:198], s[40:41]
	v_add_f64 v[76:77], v[188:189], v[76:77]
	v_fma_f64 v[188:189], v[205:206], s[20:21], v[86:87]
	v_mul_f64 v[30:31], v[219:220], s[54:55]
	v_mul_f64 v[16:17], v[215:216], s[26:27]
	v_fma_f64 v[86:87], v[205:206], s[20:21], -v[86:87]
	v_add_f64 v[12:13], v[12:13], v[24:25]
	v_fma_f64 v[24:25], v[207:208], s[20:21], -v[74:75]
	v_add_f64 v[32:33], v[32:33], v[36:37]
	v_fma_f64 v[36:37], v[199:200], s[2:3], -v[174:175]
	v_add_f64 v[92:93], v[92:93], v[94:95]
	v_add_f64 v[94:95], v[162:163], v[166:167]
	v_add_f64 v[162:163], v[160:161], v[168:169]
	v_mul_f64 v[160:161], v[6:7], s[48:49]
	v_add_f64 v[42:43], v[42:43], v[60:61]
	v_add_f64 v[34:35], v[82:83], v[34:35]
	v_fma_f64 v[82:83], v[190:191], s[20:21], -v[184:185]
	v_fma_f64 v[184:185], v[190:191], s[20:21], v[184:185]
	v_add_f64 v[18:19], v[18:19], v[72:73]
	v_fma_f64 v[72:73], v[195:196], s[2:3], v[172:173]
	v_fma_f64 v[172:173], v[195:196], s[2:3], -v[172:173]
	v_fma_f64 v[74:75], v[207:208], s[20:21], v[74:75]
	v_add_f64 v[50:51], v[50:51], v[2:3]
	v_add_f64 v[38:39], v[48:49], v[38:39]
	;; [unrolled: 1-line block ×4, first 2 shown]
	v_fma_f64 v[54:55], v[195:196], s[10:11], v[44:45]
	v_fma_f64 v[10:11], v[176:177], s[10:11], v[130:131]
	v_add_f64 v[26:27], v[90:91], v[26:27]
	v_add_f64 v[62:63], v[249:250], v[62:63]
	v_fma_f64 v[90:91], v[199:200], s[10:11], -v[80:81]
	v_dual_mov_b32 v250, v15 :: v_dual_mov_b32 v249, v14
	v_mul_f64 v[48:49], v[4:5], s[54:55]
	v_fma_f64 v[14:15], v[180:181], s[24:25], -v[223:224]
	v_fma_f64 v[44:45], v[195:196], s[10:11], -v[44:45]
	v_fma_f64 v[60:61], v[199:200], s[10:11], v[80:81]
	v_fma_f64 v[80:81], v[186:187], s[0:1], v[253:254]
	;; [unrolled: 1-line block ×4, first 2 shown]
	v_add_f64 v[76:77], v[188:189], v[76:77]
	v_fma_f64 v[168:169], v[199:200], s[0:1], -v[64:65]
	v_mov_b32_e32 v245, v6
	v_add_f64 v[188:189], v[146:147], -v[142:143]
	v_add_f64 v[12:13], v[247:248], v[12:13]
	v_add_f64 v[24:25], v[24:25], v[78:79]
	v_lshlrev_b32_e32 v248, 4, v250
	v_add_f64 v[32:33], v[36:37], v[32:33]
	v_add_f64 v[36:37], v[193:194], v[92:93]
	s_clause 0x1
	scratch_load_b32 v194, off, off offset:444
	scratch_load_b32 v193, off, off offset:436
	v_add_f64 v[78:79], v[158:159], v[94:95]
	v_fma_f64 v[94:95], v[182:183], s[24:25], v[98:99]
	scratch_load_b64 v[98:99], off, off offset:468 ; 8-byte Folded Reload
	v_fma_f64 v[92:93], v[205:206], s[2:3], v[16:17]
	v_add_f64 v[34:35], v[82:83], v[34:35]
	v_add_f64 v[82:83], v[156:157], v[162:163]
	v_fma_f64 v[158:159], v[186:187], s[0:1], -v[253:254]
	v_add_f64 v[18:19], v[72:73], v[18:19]
	v_fma_f64 v[72:73], v[190:191], s[0:1], -v[227:228]
	v_fma_f64 v[56:57], v[195:196], s[0:1], -v[56:57]
	v_add_f64 v[68:69], v[86:87], v[68:69]
	v_add_f64 v[4:5], v[172:173], v[38:39]
	;; [unrolled: 1-line block ×3, first 2 shown]
	scratch_load_b64 v[74:75], off, off offset:476 ; 8-byte Folded Reload
	v_fma_f64 v[172:173], v[180:181], s[2:3], -v[40:41]
	scratch_store_b64 off, v[10:11], off offset:604 ; 8-byte Folded Spill
	v_add_f64 v[6:7], v[184:185], v[26:27]
	v_add_f64 v[38:39], v[54:55], v[62:63]
	v_add_f64 v[62:63], v[90:91], v[66:67]
	scratch_load_b64 v[90:91], off, off offset:484 ; 8-byte Folded Reload
	v_fma_f64 v[54:55], v[190:191], s[18:19], -v[164:165]
	v_fma_f64 v[26:27], v[190:191], s[0:1], v[227:228]
	v_add_f64 v[8:9], v[8:9], v[28:29]
	v_add_f64 v[42:43], v[44:45], v[42:43]
	v_fma_f64 v[44:45], v[190:191], s[18:19], v[164:165]
	scratch_load_b64 v[164:165], off, off offset:612 ; 8-byte Folded Reload
	v_add_f64 v[0:1], v[60:61], v[0:1]
	v_add_f64 v[50:51], v[166:167], v[50:51]
	v_fma_f64 v[28:29], v[186:187], s[18:19], v[22:23]
	v_fma_f64 v[22:23], v[186:187], s[18:19], -v[22:23]
	v_fma_f64 v[66:67], v[186:187], s[10:11], v[30:31]
	v_add_f64 v[76:77], v[84:85], v[76:77]
	v_fma_f64 v[84:85], v[190:191], s[10:11], -v[48:49]
	v_add_f64 v[24:25], v[168:169], v[24:25]
	v_add_f64 v[184:185], v[144:145], -v[140:141]
	v_mul_f64 v[156:157], v[219:220], s[28:29]
	v_fma_f64 v[30:31], v[186:187], s[10:11], -v[30:31]
	v_fma_f64 v[48:49], v[190:191], s[10:11], v[48:49]
	v_fma_f64 v[162:163], v[182:183], s[2:3], v[46:47]
	v_fma_f64 v[16:17], v[205:206], s[2:3], -v[16:17]
	v_or_b32_e32 v247, 0x480, v250
	v_add_f64 v[18:19], v[80:81], v[18:19]
	v_fma_f64 v[80:81], v[180:181], s[2:3], v[40:41]
	v_fma_f64 v[40:41], v[221:222], s[0:1], -v[128:129]
	v_add_f64 v[32:33], v[72:73], v[32:33]
	v_add_f64 v[4:5], v[158:159], v[4:5]
	;; [unrolled: 1-line block ×9, first 2 shown]
	v_mul_f64 v[38:39], v[188:189], s[30:31]
	v_add_f64 v[22:23], v[22:23], v[42:43]
	v_add_f64 v[66:67], v[66:67], v[76:77]
	v_fma_f64 v[42:43], v[182:183], s[0:1], v[52:53]
	v_fma_f64 v[76:77], v[182:183], s[2:3], -v[46:47]
	v_mul_f64 v[158:159], v[184:185], s[36:37]
	v_add_f64 v[24:25], v[84:85], v[24:25]
	v_mul_f64 v[26:27], v[184:185], s[30:31]
	v_mul_f64 v[46:47], v[235:236], s[34:35]
	v_mul_f64 v[84:85], v[197:198], s[48:49]
	v_add_f64 v[166:167], v[30:31], v[56:57]
	v_mul_f64 v[30:31], v[233:234], s[34:35]
	v_mul_f64 v[56:57], v[251:252], s[28:29]
	scratch_store_b64 off, v[6:7], off offset:564 ; 8-byte Folded Spill
	v_add_f64 v[24:25], v[76:77], v[24:25]
	v_fma_f64 v[170:171], v[176:177], s[20:21], v[26:27]
	v_fma_f64 v[223:224], v[176:177], s[20:21], -v[26:27]
	scratch_store_b64 off, v[24:25], off offset:468 ; 8-byte Folded Spill
	s_waitcnt vmcnt(3)
	v_fma_f64 v[10:11], v[178:179], s[10:11], -v[98:99]
	s_waitcnt vmcnt(1)
	v_fma_f64 v[60:61], v[180:181], s[18:19], v[90:91]
	v_fma_f64 v[72:73], v[180:181], s[18:19], -v[90:91]
	s_waitcnt vmcnt(0)
	v_mul_f64 v[94:95], v[164:165], s[26:27]
	scratch_store_b64 off, v[10:11], off offset:516 ; 8-byte Folded Spill
	v_fma_f64 v[10:11], v[176:177], s[10:11], -v[130:131]
	scratch_load_b128 v[128:131], off, off offset:628 ; 16-byte Folded Reload
	v_add_f64 v[227:228], v[72:73], v[4:5]
	scratch_store_b64 off, v[10:11], off offset:524 ; 8-byte Folded Spill
	v_add_f64 v[10:11], v[88:89], v[12:13]
	v_fma_f64 v[12:13], v[199:200], s[0:1], v[64:65]
	v_fma_f64 v[64:65], v[195:196], s[20:21], v[160:161]
	;; [unrolled: 1-line block ×3, first 2 shown]
	v_fma_f64 v[46:47], v[225:226], s[10:11], -v[46:47]
	scratch_store_b64 off, v[10:11], off offset:532 ; 8-byte Folded Spill
	v_add_f64 v[10:11], v[58:59], v[34:35]
	v_mul_f64 v[34:35], v[188:189], s[42:43]
	v_add_f64 v[50:51], v[64:65], v[50:51]
	v_mul_f64 v[64:65], v[237:238], s[48:49]
	v_add_f64 v[12:13], v[12:13], v[2:3]
	scratch_store_b64 off, v[10:11], off offset:540 ; 8-byte Folded Spill
	v_add_f64 v[10:11], v[14:15], v[36:37]
	v_add_f64 v[14:15], v[154:155], v[78:79]
	;; [unrolled: 1-line block ×3, first 2 shown]
	v_fma_f64 v[78:79], v[182:183], s[0:1], -v[52:53]
	v_mul_f64 v[52:53], v[237:238], s[34:35]
	v_mul_f64 v[154:155], v[188:189], s[36:37]
	v_fma_f64 v[4:5], v[178:179], s[24:25], v[34:35]
	v_mul_f64 v[152:153], v[20:21], s[50:51]
	scratch_store_b64 off, v[10:11], off offset:548 ; 8-byte Folded Spill
	v_fma_f64 v[10:11], v[178:179], s[10:11], v[98:99]
	v_add_f64 v[14:15], v[150:151], v[14:15]
	v_add_f64 v[36:37], v[148:149], v[36:37]
	scratch_load_b64 v[98:99], off, off offset:644 ; 8-byte Folded Reload
	v_fma_f64 v[26:27], v[231:232], s[10:11], -v[52:53]
	v_add_f64 v[150:151], v[48:49], v[12:13]
	v_mul_f64 v[12:13], v[233:234], s[36:37]
	v_add_f64 v[2:3], v[78:79], v[54:55]
	v_fma_f64 v[54:55], v[231:232], s[20:21], v[64:65]
	v_fma_f64 v[78:79], v[221:222], s[10:11], -v[30:31]
	v_fma_f64 v[30:31], v[221:222], s[10:11], v[30:31]
	v_mul_f64 v[48:49], v[235:236], s[52:53]
	v_mul_f64 v[148:149], v[184:185], s[44:45]
	scratch_store_b64 off, v[10:11], off offset:556 ; 8-byte Folded Spill
	scratch_load_b64 v[10:11], off, off offset:460 ; 8-byte Folded Reload
	v_fma_f64 v[58:59], v[182:183], s[18:19], -v[74:75]
	v_fma_f64 v[6:7], v[182:183], s[18:19], v[74:75]
	v_add_f64 v[14:15], v[146:147], v[14:15]
	v_add_f64 v[36:37], v[144:145], v[36:37]
	;; [unrolled: 1-line block ×3, first 2 shown]
	v_fma_f64 v[144:145], v[180:181], s[16:17], v[152:153]
	v_add_f64 v[54:55], v[132:133], v[54:55]
	v_fma_f64 v[90:91], v[225:226], s[18:19], v[48:49]
	v_fma_f64 v[48:49], v[225:226], s[18:19], -v[48:49]
	v_add_f64 v[6:7], v[6:7], v[8:9]
	v_add_f64 v[14:15], v[142:143], v[14:15]
	;; [unrolled: 1-line block ×3, first 2 shown]
	v_mul_f64 v[8:9], v[237:238], s[52:53]
	v_mul_f64 v[140:141], v[164:165], s[22:23]
	v_fma_f64 v[142:143], v[213:214], s[20:21], -v[84:85]
	v_add_f64 v[14:15], v[138:139], v[14:15]
	v_add_f64 v[36:37], v[136:137], v[36:37]
	v_mul_f64 v[138:139], v[215:216], s[34:35]
	s_waitcnt vmcnt(2)
	s_delay_alu instid0(VALU_DEP_3) | instskip(NEXT) | instid1(VALU_DEP_3)
	v_add_f64 v[14:15], v[130:131], v[14:15]
	v_add_f64 v[36:37], v[128:129], v[36:37]
	v_mul_f64 v[128:129], v[219:220], s[36:37]
	v_mul_f64 v[130:131], v[251:252], s[36:37]
	s_delay_alu instid0(VALU_DEP_4) | instskip(NEXT) | instid1(VALU_DEP_4)
	v_add_f64 v[14:15], v[102:103], v[14:15]
	v_add_f64 v[36:37], v[100:101], v[36:37]
	scratch_load_b128 v[100:103], off, off offset:420 ; 16-byte Folded Reload
	v_add_f64 v[14:15], v[243:244], v[14:15]
	v_add_f64 v[36:37], v[241:242], v[36:37]
	s_delay_alu instid0(VALU_DEP_2) | instskip(NEXT) | instid1(VALU_DEP_2)
	v_add_f64 v[14:15], v[203:204], v[14:15]
	v_add_f64 v[36:37], v[201:202], v[36:37]
	s_delay_alu instid0(VALU_DEP_2) | instskip(NEXT) | instid1(VALU_DEP_2)
	v_add_f64 v[14:15], v[211:212], v[14:15]
	v_add_f64 v[36:37], v[209:210], v[36:37]
	s_waitcnt vmcnt(1)
	v_fma_f64 v[74:75], v[180:181], s[0:1], v[10:11]
	v_fma_f64 v[62:63], v[180:181], s[0:1], -v[10:11]
	scratch_load_b64 v[10:11], off, off offset:452 ; 8-byte Folded Reload
	v_add_f64 v[168:169], v[62:63], v[22:23]
	v_fma_f64 v[22:23], v[178:179], s[20:21], v[38:39]
	v_mul_f64 v[62:63], v[96:97], s[48:49]
	s_waitcnt vmcnt(0)
	v_fma_f64 v[0:1], v[176:177], s[24:25], v[10:11]
	v_fma_f64 v[253:254], v[176:177], s[24:25], -v[10:11]
	v_fma_f64 v[10:11], v[176:177], s[16:17], v[158:159]
	scratch_store_b64 off, v[0:1], off offset:572 ; 8-byte Folded Spill
	v_add_f64 v[0:1], v[60:61], v[18:19]
	scratch_store_b64 off, v[10:11], off offset:508 ; 8-byte Folded Spill
	scratch_load_b64 v[10:11], off, off offset:652 ; 8-byte Folded Reload
	v_mul_f64 v[18:19], v[239:240], s[48:49]
	v_mul_f64 v[60:61], v[239:240], s[38:39]
	scratch_store_b64 off, v[0:1], off offset:580 ; 8-byte Folded Spill
	v_fma_f64 v[0:1], v[178:179], s[24:25], -v[34:35]
	v_mul_f64 v[34:35], v[237:238], s[38:39]
	v_add_f64 v[237:238], v[74:75], v[28:29]
	v_add_f64 v[28:29], v[80:81], v[66:67]
	scratch_load_b64 v[74:75], off, off offset:620 ; 8-byte Folded Reload
	v_fma_f64 v[24:25], v[229:230], s[20:21], -v[18:19]
	v_fma_f64 v[18:19], v[229:230], s[20:21], v[18:19]
	v_mul_f64 v[80:81], v[197:198], s[36:37]
	v_mul_f64 v[174:175], v[98:99], s[50:51]
	s_mov_b32 s51, 0x3fc7851a
	s_mov_b32 s50, s22
	s_delay_alu instid0(SALU_CYCLE_1)
	v_mul_f64 v[68:69], v[197:198], s[50:51]
	scratch_store_b64 off, v[28:29], off offset:452 ; 8-byte Folded Spill
	v_fma_f64 v[28:29], v[178:179], s[16:17], -v[154:155]
	scratch_store_b64 off, v[22:23], off offset:476 ; 8-byte Folded Spill
	v_add_f64 v[22:23], v[42:43], v[44:45]
	scratch_store_b64 off, v[0:1], off offset:588 ; 8-byte Folded Spill
	v_add_f64 v[0:1], v[58:59], v[32:33]
	v_mul_f64 v[32:33], v[239:240], s[52:53]
	v_fma_f64 v[58:59], v[186:187], s[8:9], v[156:157]
	v_fma_f64 v[239:240], v[178:179], s[20:21], -v[38:39]
	v_mul_f64 v[42:43], v[233:234], s[52:53]
	v_fma_f64 v[44:45], v[229:230], s[2:3], -v[60:61]
	v_fma_f64 v[60:61], v[229:230], s[2:3], v[60:61]
	v_add_f64 v[24:25], v[134:135], v[24:25]
	v_add_f64 v[18:19], v[134:135], v[18:19]
	v_mul_f64 v[233:234], v[188:189], s[44:45]
	scratch_store_b64 off, v[28:29], off offset:460 ; 8-byte Folded Spill
	v_mul_f64 v[28:29], v[235:236], s[36:37]
	scratch_store_b64 off, v[22:23], off offset:484 ; 8-byte Folded Spill
	;; [unrolled: 2-line block ×3, first 2 shown]
	v_dual_mov_b32 v0, v20 :: v_dual_mov_b32 v1, v21
	v_fma_f64 v[38:39], v[229:230], s[18:19], -v[32:33]
	v_add_f64 v[146:147], v[58:59], v[50:51]
	v_fma_f64 v[58:59], v[231:232], s[20:21], -v[64:65]
	v_fma_f64 v[32:33], v[229:230], s[18:19], v[32:33]
	v_fma_f64 v[50:51], v[231:232], s[2:3], v[34:35]
	v_fma_f64 v[34:35], v[231:232], s[2:3], -v[34:35]
	v_fma_f64 v[86:87], v[221:222], s[18:19], -v[42:43]
	v_add_f64 v[44:45], v[134:135], v[44:45]
	v_fma_f64 v[42:43], v[221:222], s[18:19], v[42:43]
	v_add_f64 v[60:61], v[134:135], v[60:61]
	v_fma_f64 v[76:77], v[225:226], s[16:17], v[28:29]
	v_fma_f64 v[28:29], v[225:226], s[16:17], -v[28:29]
	v_fma_f64 v[66:67], v[225:226], s[0:1], -v[22:23]
	v_fma_f64 v[22:23], v[225:226], s[0:1], v[22:23]
	v_add_f64 v[38:39], v[134:135], v[38:39]
	v_add_f64 v[58:59], v[132:133], v[58:59]
	;; [unrolled: 1-line block ×6, first 2 shown]
	v_mul_f64 v[86:87], v[164:165], s[34:35]
	v_add_f64 v[42:43], v[42:43], v[60:61]
	v_add_f64 v[54:55], v[76:77], v[54:55]
	;; [unrolled: 1-line block ×3, first 2 shown]
	v_fma_f64 v[66:67], v[213:214], s[24:25], -v[70:71]
	v_mul_f64 v[70:71], v[164:165], s[40:41]
	v_add_f64 v[38:39], v[78:79], v[38:39]
	v_fma_f64 v[78:79], v[213:214], s[16:17], -v[80:81]
	v_add_f64 v[28:29], v[28:29], v[58:59]
	v_fma_f64 v[58:59], v[213:214], s[16:17], v[80:81]
	v_add_f64 v[30:31], v[30:31], v[32:33]
	v_add_f64 v[50:51], v[90:91], v[50:51]
	;; [unrolled: 1-line block ×3, first 2 shown]
	v_fma_f64 v[48:49], v[207:208], s[2:3], -v[94:95]
	v_add_f64 v[44:45], v[142:143], v[44:45]
	v_fma_f64 v[80:81], v[207:208], s[24:25], v[70:71]
	v_add_f64 v[38:39], v[78:79], v[38:39]
	v_fma_f64 v[78:79], v[207:208], s[0:1], v[140:141]
	v_add_f64 v[30:31], v[58:59], v[30:31]
	v_fma_f64 v[58:59], v[207:208], s[0:1], -v[140:141]
	v_fma_f64 v[140:141], v[178:179], s[18:19], v[233:234]
	s_waitcnt vmcnt(1)
	v_fma_f64 v[20:21], v[229:230], s[10:11], -v[10:11]
	v_fma_f64 v[10:11], v[231:232], s[10:11], v[52:53]
	v_fma_f64 v[52:53], v[231:232], s[18:19], v[8:9]
	v_fma_f64 v[8:9], v[231:232], s[18:19], -v[8:9]
	s_delay_alu instid0(VALU_DEP_4) | instskip(NEXT) | instid1(VALU_DEP_4)
	v_add_f64 v[20:21], v[134:135], v[20:21]
	v_add_f64 v[10:11], v[132:133], v[10:11]
	s_delay_alu instid0(VALU_DEP_4)
	v_add_f64 v[52:53], v[132:133], v[52:53]
	s_waitcnt vmcnt(0)
	v_dual_mov_b32 v93, v75 :: v_dual_mov_b32 v92, v74
	v_mul_f64 v[64:65], v[74:75], s[40:41]
	v_mul_f64 v[72:73], v[74:75], s[50:51]
	v_fma_f64 v[74:75], v[221:222], s[16:17], -v[12:13]
	v_fma_f64 v[12:13], v[221:222], s[16:17], v[12:13]
	v_mul_f64 v[82:83], v[92:93], s[36:37]
	v_add_f64 v[8:9], v[132:133], v[8:9]
	v_mul_f64 v[92:93], v[92:93], s[48:49]
	v_fma_f64 v[134:135], v[213:214], s[0:1], -v[68:69]
	v_add_f64 v[20:21], v[40:41], v[20:21]
	v_add_f64 v[10:11], v[22:23], v[10:11]
	v_fma_f64 v[22:23], v[213:214], s[0:1], v[68:69]
	v_add_f64 v[52:53], v[88:89], v[52:53]
	v_mul_f64 v[68:69], v[245:246], s[44:45]
	v_fma_f64 v[132:133], v[217:218], s[24:25], -v[64:65]
	v_fma_f64 v[40:41], v[217:218], s[24:25], v[64:65]
	v_mul_f64 v[64:65], v[215:216], s[40:41]
	v_add_f64 v[24:25], v[74:75], v[24:25]
	v_mul_f64 v[74:75], v[215:216], s[22:23]
	v_add_f64 v[12:13], v[12:13], v[18:19]
	v_fma_f64 v[18:19], v[217:218], s[0:1], -v[72:73]
	v_fma_f64 v[32:33], v[217:218], s[16:17], -v[82:83]
	v_add_f64 v[8:9], v[46:47], v[8:9]
	v_fma_f64 v[46:47], v[213:214], s[20:21], v[84:85]
	v_fma_f64 v[136:137], v[217:218], s[0:1], v[72:73]
	;; [unrolled: 1-line block ×3, first 2 shown]
	v_mul_f64 v[72:73], v[96:97], s[44:45]
	v_mul_f64 v[82:83], v[245:246], s[46:47]
	;; [unrolled: 1-line block ×3, first 2 shown]
	v_fma_f64 v[90:91], v[217:218], s[20:21], v[92:93]
	v_fma_f64 v[60:61], v[217:218], s[20:21], -v[92:93]
	v_mul_f64 v[92:93], v[245:246], s[42:43]
	v_add_f64 v[20:21], v[66:67], v[20:21]
	v_fma_f64 v[66:67], v[207:208], s[2:3], v[94:95]
	v_mul_f64 v[94:95], v[96:97], s[42:43]
	v_dual_mov_b32 v96, v184 :: v_dual_mov_b32 v97, v185
	v_add_f64 v[26:27], v[132:133], v[26:27]
	v_add_f64 v[10:11], v[40:41], v[10:11]
	v_fma_f64 v[76:77], v[205:206], s[24:25], -v[64:65]
	v_add_f64 v[24:25], v[134:135], v[24:25]
	v_fma_f64 v[40:41], v[205:206], s[24:25], v[64:65]
	v_add_f64 v[12:13], v[22:23], v[12:13]
	v_fma_f64 v[22:23], v[207:208], s[24:25], -v[70:71]
	v_add_f64 v[18:19], v[18:19], v[28:29]
	v_fma_f64 v[28:29], v[205:206], s[0:1], v[74:75]
	v_add_f64 v[8:9], v[32:33], v[8:9]
	v_fma_f64 v[132:133], v[205:206], s[10:11], -v[138:139]
	v_fma_f64 v[32:33], v[205:206], s[10:11], v[138:139]
	v_add_f64 v[42:43], v[46:47], v[42:43]
	v_fma_f64 v[134:135], v[207:208], s[10:11], v[86:87]
	v_add_f64 v[54:55], v[136:137], v[54:55]
	v_fma_f64 v[46:47], v[207:208], s[10:11], -v[86:87]
	v_mul_f64 v[86:87], v[251:252], s[40:41]
	v_add_f64 v[50:51], v[90:91], v[50:51]
	v_fma_f64 v[90:91], v[195:196], s[8:9], -v[82:83]
	v_fma_f64 v[88:89], v[205:206], s[0:1], -v[74:75]
	v_add_f64 v[52:53], v[164:165], v[52:53]
	v_add_f64 v[34:35], v[60:61], v[34:35]
	v_fma_f64 v[60:61], v[199:200], s[20:21], -v[62:63]
	v_fma_f64 v[70:71], v[195:196], s[18:19], -v[68:69]
	;; [unrolled: 1-line block ×3, first 2 shown]
	v_fma_f64 v[74:75], v[199:200], s[18:19], v[72:73]
	v_mul_f64 v[64:65], v[251:252], s[38:39]
	v_add_f64 v[16:17], v[16:17], v[20:21]
	v_fma_f64 v[20:21], v[199:200], s[20:21], v[62:63]
	v_mul_f64 v[62:63], v[219:220], s[38:39]
	v_add_f64 v[26:27], v[48:49], v[26:27]
	v_fma_f64 v[48:49], v[195:196], s[20:21], -v[160:161]
	v_add_f64 v[10:11], v[66:67], v[10:11]
	v_add_f64 v[24:25], v[76:77], v[24:25]
	v_mul_f64 v[76:77], v[219:220], s[40:41]
	v_add_f64 v[12:13], v[40:41], v[12:13]
	v_fma_f64 v[40:41], v[199:200], s[18:19], -v[72:73]
	v_add_f64 v[18:19], v[22:23], v[18:19]
	v_fma_f64 v[22:23], v[195:196], s[8:9], v[82:83]
	v_add_f64 v[28:29], v[28:29], v[30:31]
	v_fma_f64 v[30:31], v[199:200], s[8:9], -v[84:85]
	v_add_f64 v[8:9], v[58:59], v[8:9]
	v_dual_mov_b32 v82, v98 :: v_dual_mov_b32 v83, v99
	v_add_f64 v[44:45], v[132:133], v[44:45]
	v_fma_f64 v[132:133], v[199:200], s[24:25], v[94:95]
	v_add_f64 v[32:33], v[32:33], v[42:43]
	v_fma_f64 v[42:43], v[199:200], s[24:25], -v[94:95]
	v_mov_b32_e32 v94, v98
	v_add_f64 v[54:55], v[80:81], v[54:55]
	v_mov_b32_e32 v95, v99
	v_mul_f64 v[80:81], v[82:83], s[30:31]
	v_add_f64 v[38:39], v[88:89], v[38:39]
	v_fma_f64 v[88:89], v[199:200], s[8:9], v[84:85]
	v_add_f64 v[52:53], v[78:79], v[52:53]
	v_mov_b32_e32 v98, v188
	v_add_f64 v[34:35], v[46:47], v[34:35]
	v_fma_f64 v[46:47], v[190:191], s[8:9], -v[56:57]
	v_mul_f64 v[78:79], v[0:1], s[30:31]
	v_fma_f64 v[84:85], v[190:191], s[24:25], v[86:87]
	v_mov_b32_e32 v99, v189
	v_fma_f64 v[58:59], v[195:196], s[24:25], v[92:93]
	v_add_f64 v[50:51], v[134:135], v[50:51]
	v_fma_f64 v[134:135], v[190:191], s[16:17], v[130:131]
	v_fma_f64 v[66:67], v[195:196], s[18:19], v[68:69]
	v_fma_f64 v[72:73], v[186:187], s[2:3], -v[62:63]
	v_mul_f64 v[68:69], v[82:83], s[34:35]
	v_add_f64 v[26:27], v[60:61], v[26:27]
	v_add_f64 v[16:17], v[48:49], v[16:17]
	v_fma_f64 v[48:49], v[190:191], s[8:9], v[56:57]
	v_mul_f64 v[56:57], v[0:1], s[34:35]
	v_fma_f64 v[60:61], v[186:187], s[8:9], -v[156:157]
	v_add_f64 v[10:11], v[20:21], v[10:11]
	v_add_f64 v[24:25], v[70:71], v[24:25]
	;; [unrolled: 1-line block ×3, first 2 shown]
	v_fma_f64 v[40:41], v[186:187], s[24:25], v[76:77]
	v_add_f64 v[22:23], v[22:23], v[28:29]
	v_fma_f64 v[28:29], v[190:191], s[24:25], -v[86:87]
	v_add_f64 v[8:9], v[30:31], v[8:9]
	v_mov_b32_e32 v86, v184
	v_fma_f64 v[82:83], v[186:187], s[24:25], -v[76:77]
	v_add_f64 v[44:45], v[136:137], v[44:45]
	v_fma_f64 v[20:21], v[186:187], s[2:3], v[62:63]
	v_fma_f64 v[30:31], v[186:187], s[16:17], v[128:129]
	v_fma_f64 v[70:71], v[190:191], s[2:3], v[64:65]
	v_fma_f64 v[62:63], v[190:191], s[2:3], -v[64:65]
	v_add_f64 v[54:55], v[74:75], v[54:55]
	v_add_f64 v[136:137], v[162:163], v[150:151]
	v_fma_f64 v[156:157], v[178:179], s[18:19], -v[233:234]
	v_add_f64 v[38:39], v[90:91], v[38:39]
	v_mul_f64 v[90:91], v[0:1], s[28:29]
	v_add_f64 v[52:53], v[88:89], v[52:53]
	v_mov_b32_e32 v88, v188
	v_add_f64 v[34:35], v[42:43], v[34:35]
	v_fma_f64 v[42:43], v[182:183], s[16:17], -v[174:175]
	v_mov_b32_e32 v89, v189
	v_mov_b32_e32 v87, v185
	v_mul_f64 v[92:93], v[94:95], s[28:29]
	v_fma_f64 v[94:95], v[186:187], s[16:17], -v[128:129]
	v_add_f64 v[50:51], v[132:133], v[50:51]
	v_add_f64 v[32:33], v[58:59], v[32:33]
	v_fma_f64 v[58:59], v[190:191], s[16:17], -v[130:131]
	v_fma_f64 v[186:187], v[176:177], s[18:19], v[148:149]
	v_add_f64 v[12:13], v[66:67], v[12:13]
	v_fma_f64 v[132:133], v[178:179], s[16:17], v[154:155]
	v_add_f64 v[26:27], v[46:47], v[26:27]
	v_fma_f64 v[46:47], v[180:181], s[16:17], -v[152:153]
	v_mul_f64 v[130:131], v[98:99], s[22:23]
	v_add_f64 v[190:191], v[144:145], v[146:147]
	v_mul_f64 v[128:129], v[96:97], s[22:23]
	v_mul_f64 v[64:65], v[86:87], s[28:29]
	;; [unrolled: 1-line block ×5, first 2 shown]
	v_fma_f64 v[88:89], v[180:181], s[20:21], -v[78:79]
	v_add_f64 v[22:23], v[40:41], v[22:23]
	v_fma_f64 v[40:41], v[182:183], s[20:21], -v[80:81]
	v_add_f64 v[8:9], v[28:29], v[8:9]
	v_add_f64 v[16:17], v[60:61], v[16:17]
	v_fma_f64 v[60:61], v[182:183], s[16:17], v[174:175]
	v_add_f64 v[10:11], v[48:49], v[10:11]
	v_fma_f64 v[74:75], v[180:181], s[10:11], -v[56:57]
	v_add_f64 v[24:25], v[72:73], v[24:25]
	v_fma_f64 v[48:49], v[180:181], s[10:11], v[56:57]
	v_fma_f64 v[72:73], v[182:183], s[10:11], v[68:69]
	v_add_f64 v[54:55], v[70:71], v[54:55]
	v_fma_f64 v[56:57], v[180:181], s[20:21], v[78:79]
	v_add_f64 v[38:39], v[82:83], v[38:39]
	v_fma_f64 v[138:139], v[180:181], s[8:9], -v[90:91]
	v_fma_f64 v[28:29], v[180:181], s[8:9], v[90:91]
	v_fma_f64 v[82:83], v[182:183], s[20:21], v[80:81]
	v_add_f64 v[52:53], v[84:85], v[52:53]
	v_add_f64 v[18:19], v[62:63], v[18:19]
	;; [unrolled: 1-line block ×4, first 2 shown]
	v_fma_f64 v[94:95], v[182:183], s[8:9], v[92:93]
	v_add_f64 v[50:51], v[134:135], v[50:51]
	v_add_f64 v[34:35], v[58:59], v[34:35]
	v_fma_f64 v[58:59], v[176:177], s[16:17], -v[158:159]
	v_add_f64 v[30:31], v[30:31], v[32:33]
	v_fma_f64 v[32:33], v[182:183], s[8:9], -v[92:93]
	;; [unrolled: 2-line block ×4, first 2 shown]
	v_add_f64 v[136:137], v[132:133], v[136:137]
	v_fma_f64 v[152:153], v[178:179], s[0:1], v[130:131]
	v_add_f64 v[134:135], v[223:224], v[168:169]
	v_add_f64 v[166:167], v[186:187], v[190:191]
	v_fma_f64 v[70:71], v[176:177], s[0:1], -v[128:129]
	v_fma_f64 v[42:43], v[176:177], s[8:9], -v[64:65]
	;; [unrolled: 1-line block ×3, first 2 shown]
	v_fma_f64 v[196:197], v[176:177], s[8:9], v[64:65]
	v_fma_f64 v[180:181], v[176:177], s[2:3], v[76:77]
	;; [unrolled: 1-line block ×3, first 2 shown]
	v_add_f64 v[128:129], v[4:5], v[6:7]
	v_add_f64 v[4:5], v[239:240], v[2:3]
	v_fma_f64 v[78:79], v[178:179], s[2:3], v[86:87]
	v_fma_f64 v[144:145], v[178:179], s[8:9], v[66:67]
	v_fma_f64 v[200:201], v[178:179], s[8:9], -v[66:67]
	v_fma_f64 v[184:185], v[178:179], s[2:3], -v[86:87]
	;; [unrolled: 1-line block ×3, first 2 shown]
	v_add_f64 v[130:131], v[253:254], v[227:228]
	v_add_f64 v[6:7], v[170:171], v[237:238]
	v_add_f64 v[188:189], v[40:41], v[8:9]
	s_clause 0x1
	scratch_load_b64 v[8:9], off, off offset:532
	scratch_load_b64 v[0:1], off, off offset:604
	v_add_f64 v[16:17], v[46:47], v[16:17]
	v_add_f64 v[204:205], v[60:61], v[10:11]
	;; [unrolled: 1-line block ×27, first 2 shown]
	v_add_nc_u32_e32 v176, 0x660, v255
	v_add_f64 v[158:159], v[196:197], v[198:199]
	v_add_f64 v[156:157], v[200:201], v[202:203]
	s_waitcnt vmcnt(0)
	v_add_f64 v[46:47], v[0:1], v[8:9]
	s_clause 0x1
	scratch_load_b64 v[8:9], off, off offset:516
	scratch_load_b64 v[10:11], off, off offset:540
	s_waitcnt vmcnt(0)
	v_add_f64 v[44:45], v[8:9], v[10:11]
	s_clause 0x1
	scratch_load_b64 v[8:9], off, off offset:524
	scratch_load_b64 v[10:11], off, off offset:548
	;; [unrolled: 5-line block ×5, first 2 shown]
	scratch_load_b128 v[0:3], off, off offset:492
	s_waitcnt vmcnt(1)
	v_add_f64 v[8:9], v[8:9], v[12:13]
	s_waitcnt vmcnt(0)
	v_add_f64 v[2:3], v[2:3], v[14:15]
	s_clause 0x1
	scratch_load_b64 v[12:13], off, off offset:476
	scratch_load_b64 v[14:15], off, off offset:484
	v_add_f64 v[0:1], v[0:1], v[36:37]
	s_waitcnt vmcnt(0)
	v_add_f64 v[132:133], v[12:13], v[14:15]
	s_clause 0x1
	scratch_load_b64 v[12:13], off, off offset:452
	scratch_load_b64 v[14:15], off, off offset:508
	s_waitcnt vmcnt(0)
	v_add_f64 v[162:163], v[14:15], v[12:13]
	s_clause 0x1
	scratch_load_b64 v[12:13], off, off offset:460
	scratch_load_b64 v[14:15], off, off offset:468
	s_waitcnt vmcnt(0)
	v_add_f64 v[160:161], v[12:13], v[14:15]
	scratch_load_b32 v13, off, off          ; 4-byte Folded Reload
	v_mul_lo_u16 v12, v250, 17
	s_delay_alu instid0(VALU_DEP_1) | instskip(SKIP_1) | instid1(VALU_DEP_1)
	v_and_b32_e32 v12, 0xffff, v12
	s_waitcnt vmcnt(0)
	v_lshl_add_u32 v12, v12, 4, v13
	ds_store_b128 v12, v[0:3]
	ds_store_b128 v12, v[152:155] offset:16
	ds_store_b128 v12, v[148:151] offset:32
	ds_store_b128 v12, v[144:147] offset:48
	ds_store_b128 v12, v[140:143] offset:64
	ds_store_b128 v12, v[136:139] offset:80
	ds_store_b128 v12, v[132:135] offset:96
	ds_store_b128 v12, v[128:131] offset:112
	ds_store_b128 v12, v[92:95] offset:128
	ds_store_b128 v12, v[44:47] offset:144
	ds_store_b128 v12, v[8:11] offset:160
	ds_store_b128 v12, v[4:7] offset:176
	ds_store_b128 v12, v[160:163] offset:192
	ds_store_b128 v12, v[164:167] offset:208
	ds_store_b128 v12, v[156:159] offset:224
	ds_store_b128 v12, v[168:171] offset:240
	ds_store_b128 v12, v[172:175] offset:256
.LBB0_13:
	s_or_b32 exec_lo, exec_lo, s33
	s_waitcnt lgkmcnt(0)
	s_waitcnt_vscnt null, 0x0
	s_barrier
	buffer_gl0_inv
	ds_load_b128 v[0:3], v192 offset:6528
	ds_load_b128 v[4:7], v192 offset:13056
	;; [unrolled: 1-line block ×8, first 2 shown]
	s_clause 0x3
	scratch_load_b128 v[50:53], off, off offset:116
	scratch_load_b128 v[70:73], off, off offset:164
	;; [unrolled: 1-line block ×4, first 2 shown]
	s_mov_b32 s2, 0xe8584caa
	s_mov_b32 s3, 0xbfebb67a
	;; [unrolled: 1-line block ×4, first 2 shown]
	s_waitcnt vmcnt(3) lgkmcnt(7)
	v_mul_f64 v[12:13], v[52:53], v[2:3]
	v_mul_f64 v[14:15], v[52:53], v[0:1]
	scratch_load_b128 v[52:55], off, off offset:52 ; 16-byte Folded Reload
	s_waitcnt vmcnt(2) lgkmcnt(6)
	v_mul_f64 v[16:17], v[58:59], v[6:7]
	v_mul_f64 v[18:19], v[58:59], v[4:5]
	scratch_load_b128 v[58:61], off, off offset:84 ; 16-byte Folded Reload
	s_waitcnt vmcnt(2) lgkmcnt(5)
	v_mul_f64 v[20:21], v[66:67], v[10:11]
	v_mul_f64 v[22:23], v[66:67], v[8:9]
	s_waitcnt lgkmcnt(1)
	v_mul_f64 v[36:37], v[72:73], v[134:135]
	v_mul_f64 v[38:39], v[72:73], v[132:133]
	scratch_load_b128 v[66:69], off, off offset:148 ; 16-byte Folded Reload
	v_fma_f64 v[48:49], v[50:51], v[0:1], v[12:13]
	v_fma_f64 v[50:51], v[50:51], v[2:3], -v[14:15]
	ds_load_b128 v[0:3], v192
	v_fma_f64 v[16:17], v[56:57], v[4:5], v[16:17]
	v_fma_f64 v[18:19], v[56:57], v[6:7], -v[18:19]
	ds_load_b128 v[4:7], v192 offset:1632
	v_fma_f64 v[20:21], v[64:65], v[8:9], v[20:21]
	v_fma_f64 v[22:23], v[64:65], v[10:11], -v[22:23]
	v_fma_f64 v[36:37], v[70:71], v[132:133], v[36:37]
	v_fma_f64 v[38:39], v[70:71], v[134:135], -v[38:39]
	s_waitcnt lgkmcnt(1)
	v_add_f64 v[64:65], v[0:1], v[48:49]
	s_waitcnt lgkmcnt(0)
	s_delay_alu instid0(VALU_DEP_4)
	v_add_f64 v[70:71], v[6:7], v[22:23]
	s_waitcnt vmcnt(2)
	v_mul_f64 v[32:33], v[54:55], v[130:131]
	v_mul_f64 v[34:35], v[54:55], v[128:129]
	s_waitcnt vmcnt(1)
	v_mul_f64 v[24:25], v[60:61], v[46:47]
	v_mul_f64 v[26:27], v[60:61], v[44:45]
	scratch_load_b128 v[60:63], off, off offset:100 ; 16-byte Folded Reload
	ds_load_b128 v[8:11], v192 offset:3264
	ds_load_b128 v[12:15], v192 offset:4896
	s_waitcnt vmcnt(0) lgkmcnt(0)
	s_barrier
	buffer_gl0_inv
	v_mul_f64 v[40:41], v[68:69], v[138:139]
	v_mul_f64 v[42:43], v[68:69], v[136:137]
	v_add_f64 v[68:69], v[4:5], v[20:21]
	v_add_f64 v[76:77], v[12:13], v[36:37]
	;; [unrolled: 1-line block ×3, first 2 shown]
	v_fma_f64 v[32:33], v[52:53], v[128:129], v[32:33]
	v_fma_f64 v[34:35], v[52:53], v[130:131], -v[34:35]
	v_fma_f64 v[24:25], v[58:59], v[44:45], v[24:25]
	v_fma_f64 v[26:27], v[58:59], v[46:47], -v[26:27]
	v_add_f64 v[46:47], v[50:51], v[18:19]
	v_add_f64 v[44:45], v[48:49], v[16:17]
	v_add_f64 v[48:49], v[48:49], -v[16:17]
	v_fma_f64 v[40:41], v[66:67], v[136:137], v[40:41]
	v_fma_f64 v[42:43], v[66:67], v[138:139], -v[42:43]
	v_add_f64 v[66:67], v[50:51], -v[18:19]
	v_add_f64 v[50:51], v[2:3], v[50:51]
	v_add_f64 v[52:53], v[20:21], v[24:25]
	v_add_f64 v[54:55], v[22:23], v[26:27]
	v_fma_f64 v[46:47], v[46:47], -0.5, v[2:3]
	v_add_f64 v[80:81], v[22:23], -v[26:27]
	v_fma_f64 v[44:45], v[44:45], -0.5, v[0:1]
	v_add_f64 v[0:1], v[64:65], v[16:17]
	v_add_f64 v[82:83], v[20:21], -v[24:25]
	v_add_f64 v[90:91], v[36:37], -v[40:41]
	v_add_f64 v[88:89], v[38:39], -v[42:43]
	v_add_f64 v[2:3], v[50:51], v[18:19]
	v_fma_f64 v[52:53], v[52:53], -0.5, v[4:5]
	v_fma_f64 v[54:55], v[54:55], -0.5, v[6:7]
	v_fma_f64 v[18:19], v[48:49], s[0:1], v[46:47]
	v_fma_f64 v[22:23], v[48:49], s[2:3], v[46:47]
	scratch_load_b32 v48, off, off offset:388 ; 4-byte Folded Reload
	v_fma_f64 v[16:17], v[66:67], s[2:3], v[44:45]
	v_fma_f64 v[20:21], v[66:67], s[0:1], v[44:45]
	v_add_f64 v[4:5], v[68:69], v[24:25]
	v_add_f64 v[6:7], v[70:71], v[26:27]
	s_waitcnt vmcnt(0)
	ds_store_b128 v48, v[0:3]
	ds_store_b128 v48, v[16:19] offset:272
	ds_store_b128 v48, v[20:23] offset:544
	v_mul_f64 v[28:29], v[62:63], v[94:95]
	v_mul_f64 v[30:31], v[62:63], v[92:93]
	v_fma_f64 v[24:25], v[80:81], s[2:3], v[52:53]
	v_fma_f64 v[26:27], v[82:83], s[0:1], v[54:55]
	v_add_f64 v[62:63], v[38:39], v[42:43]
	scratch_load_b32 v0, off, off offset:380 ; 4-byte Folded Reload
	v_fma_f64 v[28:29], v[60:61], v[92:93], v[28:29]
	v_fma_f64 v[30:31], v[60:61], v[94:95], -v[30:31]
	v_add_f64 v[60:61], v[36:37], v[40:41]
	v_fma_f64 v[62:63], v[62:63], -0.5, v[14:15]
	v_add_f64 v[14:15], v[78:79], v[42:43]
	v_add_f64 v[56:57], v[28:29], v[32:33]
	;; [unrolled: 1-line block ×5, first 2 shown]
	v_add_f64 v[84:85], v[30:31], -v[34:35]
	v_add_f64 v[86:87], v[28:29], -v[32:33]
	v_fma_f64 v[28:29], v[80:81], s[0:1], v[52:53]
	v_fma_f64 v[30:31], v[82:83], s[2:3], v[54:55]
	v_fma_f64 v[60:61], v[60:61], -0.5, v[12:13]
	v_add_f64 v[12:13], v[76:77], v[40:41]
	v_fma_f64 v[42:43], v[90:91], s[0:1], v[62:63]
	v_fma_f64 v[46:47], v[90:91], s[2:3], v[62:63]
	s_waitcnt vmcnt(0)
	ds_store_b128 v0, v[4:7]
	ds_store_b128 v0, v[24:27] offset:272
	ds_store_b128 v0, v[28:31] offset:544
	v_fma_f64 v[56:57], v[56:57], -0.5, v[8:9]
	v_fma_f64 v[58:59], v[58:59], -0.5, v[10:11]
	v_add_f64 v[8:9], v[72:73], v[32:33]
	v_add_f64 v[10:11], v[74:75], v[34:35]
	v_fma_f64 v[40:41], v[88:89], s[2:3], v[60:61]
	v_fma_f64 v[44:45], v[88:89], s[0:1], v[60:61]
	scratch_load_b32 v0, off, off offset:372 ; 4-byte Folded Reload
	v_fma_f64 v[32:33], v[84:85], s[2:3], v[56:57]
	v_fma_f64 v[34:35], v[86:87], s[0:1], v[58:59]
	;; [unrolled: 1-line block ×4, first 2 shown]
	s_waitcnt vmcnt(0)
	ds_store_b128 v0, v[8:11]
	ds_store_b128 v0, v[32:35] offset:272
	ds_store_b128 v0, v[36:39] offset:544
	ds_store_b128 v194, v[12:15]
	ds_store_b128 v194, v[40:43] offset:272
	ds_store_b128 v194, v[44:47] offset:544
	s_waitcnt lgkmcnt(0)
	s_barrier
	buffer_gl0_inv
	ds_load_b128 v[0:3], v192 offset:4896
	ds_load_b128 v[4:7], v192 offset:9792
	;; [unrolled: 1-line block ×10, first 2 shown]
	s_clause 0x6
	scratch_load_b128 v[90:93], off, off offset:244
	scratch_load_b128 v[84:87], off, off offset:212
	scratch_load_b128 v[94:97], off, off offset:260
	scratch_load_b128 v[80:83], off, off offset:196
	scratch_load_b128 v[76:79], off, off offset:180
	scratch_load_b128 v[132:135], off, off offset:308
	scratch_load_b128 v[128:131], off, off offset:292
	s_waitcnt vmcnt(6) lgkmcnt(8)
	v_mul_f64 v[44:45], v[92:93], v[6:7]
	s_waitcnt vmcnt(5) lgkmcnt(7)
	v_mul_f64 v[48:49], v[86:87], v[10:11]
	v_mul_f64 v[50:51], v[86:87], v[8:9]
	scratch_load_b128 v[86:89], off, off offset:228 ; 16-byte Folded Reload
	s_waitcnt vmcnt(5)
	v_mul_f64 v[40:41], v[96:97], v[2:3]
	v_mul_f64 v[42:43], v[96:97], v[0:1]
	scratch_load_b128 v[96:99], off, off offset:276 ; 16-byte Folded Reload
	s_waitcnt vmcnt(5) lgkmcnt(6)
	v_mul_f64 v[54:55], v[82:83], v[12:13]
	s_waitcnt vmcnt(4) lgkmcnt(4)
	v_mul_f64 v[62:63], v[78:79], v[20:21]
	v_mul_f64 v[46:47], v[92:93], v[4:5]
	;; [unrolled: 1-line block ×4, first 2 shown]
	s_waitcnt vmcnt(3) lgkmcnt(3)
	v_mul_f64 v[64:65], v[134:135], v[26:27]
	s_waitcnt vmcnt(2) lgkmcnt(2)
	v_mul_f64 v[68:69], v[130:131], v[30:31]
	v_mul_f64 v[70:71], v[130:131], v[28:29]
	;; [unrolled: 1-line block ×3, first 2 shown]
	v_fma_f64 v[44:45], v[90:91], v[4:5], v[44:45]
	v_fma_f64 v[8:9], v[84:85], v[8:9], v[48:49]
	v_fma_f64 v[10:11], v[84:85], v[10:11], -v[50:51]
	v_fma_f64 v[40:41], v[94:95], v[0:1], v[40:41]
	v_fma_f64 v[42:43], v[94:95], v[2:3], -v[42:43]
	v_fma_f64 v[14:15], v[80:81], v[14:15], -v[54:55]
	;; [unrolled: 1-line block ×4, first 2 shown]
	ds_load_b128 v[0:3], v192
	ds_load_b128 v[4:7], v192 offset:1632
	v_fma_f64 v[12:13], v[80:81], v[12:13], v[52:53]
	v_fma_f64 v[24:25], v[132:133], v[24:25], v[64:65]
	;; [unrolled: 1-line block ×3, first 2 shown]
	v_fma_f64 v[30:31], v[128:129], v[30:31], -v[70:71]
	s_waitcnt vmcnt(0) lgkmcnt(0)
	s_barrier
	buffer_gl0_inv
	v_fma_f64 v[20:21], v[76:77], v[20:21], v[60:61]
	v_fma_f64 v[26:27], v[132:133], v[26:27], -v[66:67]
	v_add_f64 v[44:45], v[0:1], -v[44:45]
	v_add_f64 v[8:9], v[40:41], -v[8:9]
	;; [unrolled: 1-line block ×6, first 2 shown]
	v_fma_f64 v[30:31], v[0:1], 2.0, -v[44:45]
	v_add_f64 v[0:1], v[44:45], v[10:11]
	v_mul_f64 v[56:57], v[88:89], v[18:19]
	v_mul_f64 v[58:59], v[88:89], v[16:17]
	;; [unrolled: 1-line block ×4, first 2 shown]
	s_delay_alu instid0(VALU_DEP_4) | instskip(NEXT) | instid1(VALU_DEP_4)
	v_fma_f64 v[16:17], v[86:87], v[16:17], v[56:57]
	v_fma_f64 v[18:19], v[86:87], v[18:19], -v[58:59]
	v_fma_f64 v[56:57], v[36:37], 2.0, -v[52:53]
	v_fma_f64 v[32:33], v[96:97], v[32:33], v[72:73]
	v_fma_f64 v[34:35], v[96:97], v[34:35], -v[74:75]
	v_fma_f64 v[58:59], v[38:39], 2.0, -v[54:55]
	v_add_f64 v[48:49], v[4:5], -v[16:17]
	v_add_f64 v[50:51], v[6:7], -v[18:19]
	;; [unrolled: 1-line block ×4, first 2 shown]
	v_fma_f64 v[22:23], v[40:41], 2.0, -v[8:9]
	v_add_f64 v[16:17], v[12:13], -v[20:21]
	v_add_f64 v[20:21], v[26:27], -v[34:35]
	v_fma_f64 v[34:35], v[2:3], 2.0, -v[46:47]
	v_fma_f64 v[32:33], v[42:43], 2.0, -v[10:11]
	v_add_f64 v[2:3], v[46:47], -v[8:9]
	v_fma_f64 v[40:41], v[4:5], 2.0, -v[48:49]
	v_fma_f64 v[42:43], v[6:7], 2.0, -v[50:51]
	v_add_f64 v[4:5], v[48:49], v[18:19]
	v_fma_f64 v[14:15], v[14:15], 2.0, -v[18:19]
	v_fma_f64 v[24:25], v[24:25], 2.0, -v[28:29]
	v_add_f64 v[18:19], v[54:55], -v[28:29]
	v_add_f64 v[8:9], v[30:31], -v[22:23]
	v_fma_f64 v[6:7], v[12:13], 2.0, -v[16:17]
	v_add_f64 v[10:11], v[34:35], -v[32:33]
	v_fma_f64 v[26:27], v[26:27], 2.0, -v[20:21]
	v_fma_f64 v[28:29], v[48:49], 2.0, -v[4:5]
	scratch_load_b32 v48, off, off offset:412 ; 4-byte Folded Reload
	v_add_f64 v[14:15], v[42:43], -v[14:15]
	v_fma_f64 v[32:33], v[30:31], 2.0, -v[8:9]
	v_add_f64 v[12:13], v[40:41], -v[6:7]
	v_fma_f64 v[34:35], v[34:35], 2.0, -v[10:11]
	v_add_f64 v[6:7], v[50:51], -v[16:17]
	v_add_f64 v[16:17], v[52:53], v[20:21]
	v_add_f64 v[20:21], v[56:57], -v[24:25]
	v_add_f64 v[22:23], v[58:59], -v[26:27]
	v_fma_f64 v[24:25], v[44:45], 2.0, -v[0:1]
	v_fma_f64 v[26:27], v[46:47], 2.0, -v[2:3]
	s_waitcnt vmcnt(0)
	ds_store_b128 v48, v[8:11] offset:1632
	ds_store_b128 v48, v[0:3] offset:2448
	ds_store_b128 v48, v[32:35]
	ds_store_b128 v48, v[24:27] offset:816
	v_fma_f64 v[36:37], v[40:41], 2.0, -v[12:13]
	v_fma_f64 v[38:39], v[42:43], 2.0, -v[14:15]
	v_fma_f64 v[30:31], v[50:51], 2.0, -v[6:7]
	v_fma_f64 v[44:45], v[56:57], 2.0, -v[20:21]
	v_fma_f64 v[46:47], v[58:59], 2.0, -v[22:23]
	v_fma_f64 v[40:41], v[52:53], 2.0, -v[16:17]
	v_fma_f64 v[42:43], v[54:55], 2.0, -v[18:19]
	scratch_load_b32 v0, off, off offset:404 ; 4-byte Folded Reload
	s_waitcnt vmcnt(0)
	ds_store_b128 v0, v[36:39]
	ds_store_b128 v0, v[28:31] offset:816
	ds_store_b128 v0, v[12:15] offset:1632
	;; [unrolled: 1-line block ×3, first 2 shown]
	scratch_load_b32 v0, off, off offset:396 ; 4-byte Folded Reload
	s_waitcnt vmcnt(0)
	ds_store_b128 v0, v[44:47]
	ds_store_b128 v0, v[40:43] offset:816
	ds_store_b128 v0, v[20:23] offset:1632
	;; [unrolled: 1-line block ×3, first 2 shown]
	s_waitcnt lgkmcnt(0)
	s_barrier
	buffer_gl0_inv
	ds_load_b128 v[0:3], v192 offset:9792
	ds_load_b128 v[4:7], v192 offset:16320
	;; [unrolled: 1-line block ×4, first 2 shown]
	scratch_load_b128 v[64:67], off, off offset:324 ; 16-byte Folded Reload
	ds_load_b128 v[16:19], v192 offset:3264
	ds_load_b128 v[20:23], v192 offset:4896
	scratch_load_b128 v[68:71], off, off offset:340 ; 16-byte Folded Reload
	s_waitcnt lgkmcnt(4)
	v_mul_f64 v[26:27], v[122:123], v[4:5]
	v_mul_f64 v[44:45], v[122:123], v[6:7]
	s_waitcnt lgkmcnt(3)
	v_mul_f64 v[28:29], v[118:119], v[8:9]
	s_waitcnt lgkmcnt(1)
	v_mul_f64 v[40:41], v[106:107], v[16:17]
	v_mul_f64 v[52:53], v[106:107], v[18:19]
	;; [unrolled: 1-line block ×4, first 2 shown]
	v_fma_f64 v[48:49], v[120:121], v[6:7], -v[26:27]
	v_mul_f64 v[6:7], v[118:119], v[10:11]
	v_fma_f64 v[44:45], v[120:121], v[4:5], v[44:45]
	v_fma_f64 v[10:11], v[116:117], v[10:11], -v[28:29]
	v_fma_f64 v[18:19], v[104:105], v[18:19], -v[40:41]
	v_fma_f64 v[16:17], v[104:105], v[16:17], v[52:53]
	v_fma_f64 v[14:15], v[124:125], v[14:15], -v[30:31]
	v_fma_f64 v[12:13], v[124:125], v[12:13], v[50:51]
	v_fma_f64 v[8:9], v[116:117], v[8:9], v[6:7]
	s_waitcnt vmcnt(1)
	v_mul_f64 v[24:25], v[66:67], v[0:1]
	v_mul_f64 v[42:43], v[66:67], v[2:3]
	s_waitcnt vmcnt(0) lgkmcnt(0)
	v_mul_f64 v[62:63], v[70:71], v[22:23]
	s_delay_alu instid0(VALU_DEP_3)
	v_fma_f64 v[46:47], v[64:65], v[2:3], -v[24:25]
	v_mul_f64 v[2:3], v[70:71], v[20:21]
	ds_load_b128 v[24:27], v192 offset:6528
	ds_load_b128 v[28:31], v192 offset:13056
	;; [unrolled: 1-line block ×4, first 2 shown]
	scratch_load_b128 v[70:73], off, off offset:356 ; 16-byte Folded Reload
	v_fma_f64 v[42:43], v[64:65], v[0:1], v[42:43]
	v_fma_f64 v[20:21], v[68:69], v[20:21], v[62:63]
	s_waitcnt lgkmcnt(3)
	v_mul_f64 v[54:55], v[114:115], v[26:27]
	v_mul_f64 v[56:57], v[114:115], v[24:25]
	s_waitcnt lgkmcnt(2)
	v_mul_f64 v[58:59], v[110:111], v[30:31]
	v_mul_f64 v[60:61], v[110:111], v[28:29]
	;; [unrolled: 3-line block ×3, first 2 shown]
	v_add_f64 v[0:1], v[46:47], v[48:49]
	v_fma_f64 v[22:23], v[68:69], v[22:23], -v[2:3]
	v_add_f64 v[2:3], v[10:11], v[14:15]
	v_add_f64 v[68:69], v[10:11], -v[14:15]
	v_add_f64 v[6:7], v[42:43], v[44:45]
	v_add_f64 v[50:51], v[42:43], -v[44:45]
	v_fma_f64 v[24:25], v[112:113], v[24:25], v[54:55]
	v_fma_f64 v[26:27], v[112:113], v[26:27], -v[56:57]
	v_fma_f64 v[28:29], v[108:109], v[28:29], v[58:59]
	v_fma_f64 v[30:31], v[108:109], v[30:31], -v[60:61]
	v_add_f64 v[58:59], v[46:47], -v[48:49]
	v_fma_f64 v[36:37], v[100:101], v[36:37], v[64:65]
	v_fma_f64 v[38:39], v[100:101], v[38:39], -v[66:67]
	v_fma_f64 v[0:1], v[0:1], -0.5, v[18:19]
	v_add_f64 v[18:19], v[18:19], v[46:47]
	v_fma_f64 v[52:53], v[2:3], -0.5, v[22:23]
	v_add_f64 v[10:11], v[22:23], v[10:11]
	;; [unrolled: 2-line block ×3, first 2 shown]
	v_add_f64 v[54:55], v[24:25], v[28:29]
	v_add_f64 v[56:57], v[26:27], v[30:31]
	v_add_f64 v[74:75], v[26:27], -v[30:31]
	v_fma_f64 v[62:63], v[50:51], s[0:1], v[0:1]
	v_fma_f64 v[50:51], v[50:51], s[2:3], v[0:1]
	ds_load_b128 v[0:3], v192
	v_add_f64 v[18:19], v[18:19], v[48:49]
	v_fma_f64 v[22:23], v[58:59], s[0:1], v[60:61]
	v_add_f64 v[16:17], v[16:17], v[44:45]
	v_add_f64 v[14:15], v[10:11], v[14:15]
	s_waitcnt vmcnt(0)
	v_mul_f64 v[4:5], v[72:73], v[34:35]
	v_mul_f64 v[40:41], v[72:73], v[32:33]
	s_delay_alu instid0(VALU_DEP_2) | instskip(NEXT) | instid1(VALU_DEP_2)
	v_fma_f64 v[32:33], v[70:71], v[32:33], v[4:5]
	v_fma_f64 v[34:35], v[70:71], v[34:35], -v[40:41]
	v_add_f64 v[4:5], v[8:9], v[12:13]
	v_add_f64 v[40:41], v[8:9], -v[12:13]
	v_add_f64 v[8:9], v[20:21], v[8:9]
	v_add_f64 v[64:65], v[32:33], v[36:37]
	v_add_f64 v[66:67], v[34:35], v[38:39]
	v_fma_f64 v[70:71], v[4:5], -0.5, v[20:21]
	ds_load_b128 v[4:7], v192 offset:1632
	v_fma_f64 v[72:73], v[40:41], s[0:1], v[52:53]
	v_fma_f64 v[40:41], v[40:41], s[2:3], v[52:53]
	s_waitcnt lgkmcnt(1)
	v_add_f64 v[52:53], v[0:1], v[24:25]
	v_add_f64 v[26:27], v[2:3], v[26:27]
	v_add_f64 v[24:25], v[24:25], -v[28:29]
	v_add_f64 v[46:47], v[34:35], -v[38:39]
	v_fma_f64 v[0:1], v[54:55], -0.5, v[0:1]
	v_fma_f64 v[2:3], v[56:57], -0.5, v[2:3]
	v_mul_f64 v[56:57], v[50:51], s[2:3]
	v_mul_f64 v[50:51], v[50:51], -0.5
	v_fma_f64 v[20:21], v[58:59], s[2:3], v[60:61]
	v_mul_f64 v[54:55], v[62:63], s[2:3]
	v_mul_f64 v[58:59], v[62:63], 0.5
	v_add_f64 v[12:13], v[8:9], v[12:13]
	s_waitcnt lgkmcnt(0)
	v_add_f64 v[34:35], v[6:7], v[34:35]
	v_add_f64 v[42:43], v[4:5], v[32:33]
	v_add_f64 v[32:33], v[32:33], -v[36:37]
	v_fma_f64 v[4:5], v[64:65], -0.5, v[4:5]
	v_fma_f64 v[6:7], v[66:67], -0.5, v[6:7]
	v_fma_f64 v[60:61], v[68:69], s[2:3], v[70:71]
	v_fma_f64 v[62:63], v[68:69], s[0:1], v[70:71]
	v_mul_f64 v[64:65], v[72:73], s[2:3]
	v_mul_f64 v[68:69], v[72:73], 0.5
	v_mul_f64 v[66:67], v[40:41], s[2:3]
	v_mul_f64 v[40:41], v[40:41], -0.5
	v_add_f64 v[28:29], v[52:53], v[28:29]
	v_add_f64 v[26:27], v[26:27], v[30:31]
	v_fma_f64 v[44:45], v[24:25], s[2:3], v[2:3]
	v_fma_f64 v[48:49], v[22:23], -0.5, v[56:57]
	v_fma_f64 v[50:51], v[22:23], s[0:1], v[50:51]
	v_fma_f64 v[52:53], v[20:21], s[0:1], v[58:59]
	v_add_f64 v[34:35], v[34:35], v[38:39]
	v_fma_f64 v[38:39], v[74:75], s[0:1], v[0:1]
	v_add_f64 v[30:31], v[42:43], v[36:37]
	v_fma_f64 v[36:37], v[74:75], s[2:3], v[0:1]
	v_fma_f64 v[42:43], v[24:25], s[0:1], v[2:3]
	v_fma_f64 v[24:25], v[20:21], 0.5, v[54:55]
	v_fma_f64 v[54:55], v[46:47], s[2:3], v[4:5]
	v_fma_f64 v[56:57], v[32:33], s[0:1], v[6:7]
	;; [unrolled: 1-line block ×4, first 2 shown]
	v_fma_f64 v[64:65], v[60:61], 0.5, v[64:65]
	v_fma_f64 v[60:61], v[60:61], s[0:1], v[68:69]
	v_fma_f64 v[66:67], v[62:63], -0.5, v[66:67]
	v_fma_f64 v[62:63], v[62:63], s[0:1], v[40:41]
	v_add_f64 v[0:1], v[28:29], v[16:17]
	v_add_f64 v[2:3], v[26:27], v[18:19]
	v_add_f64 v[4:5], v[28:29], -v[16:17]
	v_add_f64 v[6:7], v[26:27], -v[18:19]
	v_add_f64 v[22:23], v[44:45], v[50:51]
	v_add_f64 v[10:11], v[34:35], v[14:15]
	;; [unrolled: 1-line block ×4, first 2 shown]
	v_add_f64 v[12:13], v[30:31], -v[12:13]
	v_add_f64 v[26:27], v[42:43], -v[52:53]
	v_add_f64 v[16:17], v[36:37], v[24:25]
	v_add_f64 v[24:25], v[36:37], -v[24:25]
	v_add_f64 v[28:29], v[38:39], -v[48:49]
	;; [unrolled: 1-line block ×3, first 2 shown]
	v_add_f64 v[18:19], v[42:43], v[52:53]
	v_add_f64 v[14:15], v[34:35], -v[14:15]
	v_add_f64 v[32:33], v[54:55], v[64:65]
	v_add_f64 v[34:35], v[56:57], v[60:61]
	v_add_f64 v[36:37], v[46:47], v[66:67]
	v_add_f64 v[38:39], v[58:59], v[62:63]
	v_add_f64 v[40:41], v[54:55], -v[64:65]
	v_add_f64 v[42:43], v[56:57], -v[60:61]
	v_add_f64 v[44:45], v[46:47], -v[66:67]
	v_add_f64 v[46:47], v[58:59], -v[62:63]
	ds_store_b128 v193, v[0:3]
	ds_store_b128 v255, v[20:23] offset:6528
	ds_store_b128 v255, v[4:7] offset:9792
	;; [unrolled: 1-line block ×11, first 2 shown]
	s_waitcnt lgkmcnt(0)
	s_barrier
	buffer_gl0_inv
	s_and_b32 exec_lo, exec_lo, vcc_lo
	s_cbranch_execz .LBB0_15
; %bb.14:
	global_load_b128 v[0:3], v248, s[12:13]
	ds_load_b128 v[4:7], v193
	ds_load_b128 v[8:11], v255 offset:1152
	s_mov_b32 s0, 0x1ac5701b
	s_mov_b32 s1, 0x3f4ac570
	s_mul_i32 s2, s5, 0x480
	s_mul_i32 s3, s4, 0x480
	s_waitcnt vmcnt(0) lgkmcnt(1)
	v_mul_f64 v[12:13], v[6:7], v[2:3]
	v_mul_f64 v[2:3], v[4:5], v[2:3]
	s_delay_alu instid0(VALU_DEP_2) | instskip(NEXT) | instid1(VALU_DEP_2)
	v_fma_f64 v[4:5], v[4:5], v[0:1], v[12:13]
	v_fma_f64 v[0:1], v[0:1], v[6:7], -v[2:3]
	v_mad_u64_u32 v[6:7], null, s6, v249, 0
	v_mad_u64_u32 v[12:13], null, s4, v250, 0
	s_mul_hi_u32 s6, s4, 0x480
	s_delay_alu instid0(SALU_CYCLE_1) | instskip(SKIP_1) | instid1(VALU_DEP_1)
	s_add_i32 s2, s6, s2
	v_add_co_u32 v20, s6, s12, v248
	v_add_co_ci_u32_e64 v21, null, s13, 0, s6
	v_mul_f64 v[2:3], v[4:5], s[0:1]
	v_mul_f64 v[4:5], v[0:1], s[0:1]
	v_dual_mov_b32 v0, v7 :: v_dual_mov_b32 v1, v13
	s_delay_alu instid0(VALU_DEP_1) | instskip(NEXT) | instid1(VALU_DEP_1)
	v_mad_u64_u32 v[13:14], null, s7, v249, v[0:1]
	v_mov_b32_e32 v7, v13
	v_mad_u64_u32 v[14:15], null, s5, v250, v[1:2]
	s_delay_alu instid0(VALU_DEP_2) | instskip(NEXT) | instid1(VALU_DEP_1)
	v_lshlrev_b64 v[0:1], 4, v[6:7]
	v_add_co_u32 v0, vcc_lo, s14, v0
	s_delay_alu instid0(VALU_DEP_3) | instskip(NEXT) | instid1(VALU_DEP_3)
	v_mov_b32_e32 v13, v14
	v_add_co_ci_u32_e32 v1, vcc_lo, s15, v1, vcc_lo
	s_delay_alu instid0(VALU_DEP_2) | instskip(NEXT) | instid1(VALU_DEP_1)
	v_lshlrev_b64 v[6:7], 4, v[12:13]
	v_add_co_u32 v6, vcc_lo, v0, v6
	s_delay_alu instid0(VALU_DEP_2) | instskip(NEXT) | instid1(VALU_DEP_2)
	v_add_co_ci_u32_e32 v7, vcc_lo, v1, v7, vcc_lo
	v_add_co_u32 v14, vcc_lo, v6, s3
	global_store_b128 v[6:7], v[2:5], off
	global_load_b128 v[2:5], v248, s[12:13] offset:1152
	v_add_co_ci_u32_e32 v15, vcc_lo, s2, v7, vcc_lo
	s_waitcnt vmcnt(0) lgkmcnt(0)
	v_mul_f64 v[12:13], v[10:11], v[4:5]
	v_mul_f64 v[4:5], v[8:9], v[4:5]
	s_delay_alu instid0(VALU_DEP_2) | instskip(NEXT) | instid1(VALU_DEP_2)
	v_fma_f64 v[8:9], v[8:9], v[2:3], v[12:13]
	v_fma_f64 v[4:5], v[2:3], v[10:11], -v[4:5]
	s_delay_alu instid0(VALU_DEP_2) | instskip(NEXT) | instid1(VALU_DEP_2)
	v_mul_f64 v[2:3], v[8:9], s[0:1]
	v_mul_f64 v[4:5], v[4:5], s[0:1]
	global_store_b128 v[14:15], v[2:5], off
	global_load_b128 v[2:5], v248, s[12:13] offset:2304
	ds_load_b128 v[6:9], v255 offset:2304
	ds_load_b128 v[10:13], v255 offset:3456
	s_waitcnt vmcnt(0) lgkmcnt(1)
	v_mul_f64 v[16:17], v[8:9], v[4:5]
	v_mul_f64 v[4:5], v[6:7], v[4:5]
	s_delay_alu instid0(VALU_DEP_2) | instskip(NEXT) | instid1(VALU_DEP_2)
	v_fma_f64 v[6:7], v[6:7], v[2:3], v[16:17]
	v_fma_f64 v[4:5], v[2:3], v[8:9], -v[4:5]
	s_delay_alu instid0(VALU_DEP_2) | instskip(NEXT) | instid1(VALU_DEP_2)
	v_mul_f64 v[2:3], v[6:7], s[0:1]
	v_mul_f64 v[4:5], v[4:5], s[0:1]
	v_add_co_u32 v6, vcc_lo, v14, s3
	v_add_co_ci_u32_e32 v7, vcc_lo, s2, v15, vcc_lo
	s_delay_alu instid0(VALU_DEP_2) | instskip(NEXT) | instid1(VALU_DEP_2)
	v_add_co_u32 v14, vcc_lo, v6, s3
	v_add_co_ci_u32_e32 v15, vcc_lo, s2, v7, vcc_lo
	v_add_co_u32 v16, vcc_lo, 0x1000, v20
	v_add_co_ci_u32_e32 v17, vcc_lo, 0, v21, vcc_lo
	global_store_b128 v[6:7], v[2:5], off
	global_load_b128 v[2:5], v248, s[12:13] offset:3456
	s_waitcnt vmcnt(0) lgkmcnt(0)
	v_mul_f64 v[8:9], v[12:13], v[4:5]
	v_mul_f64 v[4:5], v[10:11], v[4:5]
	s_delay_alu instid0(VALU_DEP_2) | instskip(NEXT) | instid1(VALU_DEP_2)
	v_fma_f64 v[8:9], v[10:11], v[2:3], v[8:9]
	v_fma_f64 v[4:5], v[2:3], v[12:13], -v[4:5]
	s_delay_alu instid0(VALU_DEP_2) | instskip(NEXT) | instid1(VALU_DEP_2)
	v_mul_f64 v[2:3], v[8:9], s[0:1]
	v_mul_f64 v[4:5], v[4:5], s[0:1]
	global_store_b128 v[14:15], v[2:5], off
	global_load_b128 v[2:5], v[16:17], off offset:512
	ds_load_b128 v[6:9], v255 offset:4608
	ds_load_b128 v[10:13], v255 offset:5760
	s_waitcnt vmcnt(0) lgkmcnt(1)
	v_mul_f64 v[18:19], v[8:9], v[4:5]
	v_mul_f64 v[4:5], v[6:7], v[4:5]
	s_delay_alu instid0(VALU_DEP_2) | instskip(NEXT) | instid1(VALU_DEP_2)
	v_fma_f64 v[6:7], v[6:7], v[2:3], v[18:19]
	v_fma_f64 v[4:5], v[2:3], v[8:9], -v[4:5]
	s_delay_alu instid0(VALU_DEP_2) | instskip(NEXT) | instid1(VALU_DEP_2)
	v_mul_f64 v[2:3], v[6:7], s[0:1]
	v_mul_f64 v[4:5], v[4:5], s[0:1]
	v_add_co_u32 v6, vcc_lo, v14, s3
	v_add_co_ci_u32_e32 v7, vcc_lo, s2, v15, vcc_lo
	s_delay_alu instid0(VALU_DEP_2) | instskip(NEXT) | instid1(VALU_DEP_2)
	v_add_co_u32 v14, vcc_lo, v6, s3
	v_add_co_ci_u32_e32 v15, vcc_lo, s2, v7, vcc_lo
	global_store_b128 v[6:7], v[2:5], off
	global_load_b128 v[2:5], v[16:17], off offset:1664
	s_waitcnt vmcnt(0) lgkmcnt(0)
	v_mul_f64 v[8:9], v[12:13], v[4:5]
	v_mul_f64 v[4:5], v[10:11], v[4:5]
	s_delay_alu instid0(VALU_DEP_2) | instskip(NEXT) | instid1(VALU_DEP_2)
	v_fma_f64 v[8:9], v[10:11], v[2:3], v[8:9]
	v_fma_f64 v[4:5], v[2:3], v[12:13], -v[4:5]
	s_delay_alu instid0(VALU_DEP_2) | instskip(NEXT) | instid1(VALU_DEP_2)
	v_mul_f64 v[2:3], v[8:9], s[0:1]
	v_mul_f64 v[4:5], v[4:5], s[0:1]
	global_store_b128 v[14:15], v[2:5], off
	global_load_b128 v[2:5], v[16:17], off offset:2816
	ds_load_b128 v[6:9], v255 offset:6912
	ds_load_b128 v[10:13], v255 offset:8064
	s_waitcnt vmcnt(0) lgkmcnt(1)
	v_mul_f64 v[18:19], v[8:9], v[4:5]
	v_mul_f64 v[4:5], v[6:7], v[4:5]
	s_delay_alu instid0(VALU_DEP_2) | instskip(NEXT) | instid1(VALU_DEP_2)
	v_fma_f64 v[6:7], v[6:7], v[2:3], v[18:19]
	v_fma_f64 v[4:5], v[2:3], v[8:9], -v[4:5]
	s_delay_alu instid0(VALU_DEP_2) | instskip(NEXT) | instid1(VALU_DEP_2)
	v_mul_f64 v[2:3], v[6:7], s[0:1]
	v_mul_f64 v[4:5], v[4:5], s[0:1]
	v_add_co_u32 v6, vcc_lo, v14, s3
	v_add_co_ci_u32_e32 v7, vcc_lo, s2, v15, vcc_lo
	s_delay_alu instid0(VALU_DEP_2) | instskip(NEXT) | instid1(VALU_DEP_2)
	v_add_co_u32 v14, vcc_lo, v6, s3
	v_add_co_ci_u32_e32 v15, vcc_lo, s2, v7, vcc_lo
	global_store_b128 v[6:7], v[2:5], off
	global_load_b128 v[2:5], v[16:17], off offset:3968
	v_add_co_u32 v16, vcc_lo, 0x2000, v20
	v_add_co_ci_u32_e32 v17, vcc_lo, 0, v21, vcc_lo
	s_waitcnt vmcnt(0) lgkmcnt(0)
	v_mul_f64 v[8:9], v[12:13], v[4:5]
	v_mul_f64 v[4:5], v[10:11], v[4:5]
	s_delay_alu instid0(VALU_DEP_2) | instskip(NEXT) | instid1(VALU_DEP_2)
	v_fma_f64 v[8:9], v[10:11], v[2:3], v[8:9]
	v_fma_f64 v[4:5], v[2:3], v[12:13], -v[4:5]
	s_delay_alu instid0(VALU_DEP_2) | instskip(NEXT) | instid1(VALU_DEP_2)
	v_mul_f64 v[2:3], v[8:9], s[0:1]
	v_mul_f64 v[4:5], v[4:5], s[0:1]
	global_store_b128 v[14:15], v[2:5], off
	global_load_b128 v[2:5], v[16:17], off offset:1024
	ds_load_b128 v[6:9], v255 offset:9216
	ds_load_b128 v[10:13], v255 offset:10368
	s_waitcnt vmcnt(0) lgkmcnt(1)
	v_mul_f64 v[18:19], v[8:9], v[4:5]
	v_mul_f64 v[4:5], v[6:7], v[4:5]
	s_delay_alu instid0(VALU_DEP_2) | instskip(NEXT) | instid1(VALU_DEP_2)
	v_fma_f64 v[6:7], v[6:7], v[2:3], v[18:19]
	v_fma_f64 v[4:5], v[2:3], v[8:9], -v[4:5]
	s_delay_alu instid0(VALU_DEP_2) | instskip(NEXT) | instid1(VALU_DEP_2)
	v_mul_f64 v[2:3], v[6:7], s[0:1]
	v_mul_f64 v[4:5], v[4:5], s[0:1]
	v_add_co_u32 v6, vcc_lo, v14, s3
	v_add_co_ci_u32_e32 v7, vcc_lo, s2, v15, vcc_lo
	s_delay_alu instid0(VALU_DEP_2) | instskip(NEXT) | instid1(VALU_DEP_2)
	v_add_co_u32 v14, vcc_lo, v6, s3
	v_add_co_ci_u32_e32 v15, vcc_lo, s2, v7, vcc_lo
	global_store_b128 v[6:7], v[2:5], off
	global_load_b128 v[2:5], v[16:17], off offset:2176
	s_waitcnt vmcnt(0) lgkmcnt(0)
	v_mul_f64 v[8:9], v[12:13], v[4:5]
	v_mul_f64 v[4:5], v[10:11], v[4:5]
	s_delay_alu instid0(VALU_DEP_2) | instskip(NEXT) | instid1(VALU_DEP_2)
	v_fma_f64 v[8:9], v[10:11], v[2:3], v[8:9]
	v_fma_f64 v[4:5], v[2:3], v[12:13], -v[4:5]
	s_delay_alu instid0(VALU_DEP_2) | instskip(NEXT) | instid1(VALU_DEP_2)
	v_mul_f64 v[2:3], v[8:9], s[0:1]
	v_mul_f64 v[4:5], v[4:5], s[0:1]
	global_store_b128 v[14:15], v[2:5], off
	global_load_b128 v[2:5], v[16:17], off offset:3328
	ds_load_b128 v[6:9], v255 offset:11520
	ds_load_b128 v[10:13], v255 offset:12672
	s_waitcnt vmcnt(0) lgkmcnt(1)
	v_mul_f64 v[16:17], v[8:9], v[4:5]
	v_mul_f64 v[4:5], v[6:7], v[4:5]
	s_delay_alu instid0(VALU_DEP_2) | instskip(NEXT) | instid1(VALU_DEP_2)
	v_fma_f64 v[6:7], v[6:7], v[2:3], v[16:17]
	v_fma_f64 v[4:5], v[2:3], v[8:9], -v[4:5]
	s_delay_alu instid0(VALU_DEP_2) | instskip(NEXT) | instid1(VALU_DEP_2)
	v_mul_f64 v[2:3], v[6:7], s[0:1]
	v_mul_f64 v[4:5], v[4:5], s[0:1]
	v_add_co_u32 v6, vcc_lo, v14, s3
	v_add_co_ci_u32_e32 v7, vcc_lo, s2, v15, vcc_lo
	v_add_co_u32 v14, vcc_lo, 0x3000, v20
	v_add_co_ci_u32_e32 v15, vcc_lo, 0, v21, vcc_lo
	s_delay_alu instid0(VALU_DEP_4) | instskip(NEXT) | instid1(VALU_DEP_4)
	v_add_co_u32 v16, vcc_lo, v6, s3
	v_add_co_ci_u32_e32 v17, vcc_lo, s2, v7, vcc_lo
	global_store_b128 v[6:7], v[2:5], off
	global_load_b128 v[2:5], v[14:15], off offset:384
	s_waitcnt vmcnt(0) lgkmcnt(0)
	v_mul_f64 v[8:9], v[12:13], v[4:5]
	v_mul_f64 v[4:5], v[10:11], v[4:5]
	s_delay_alu instid0(VALU_DEP_2) | instskip(NEXT) | instid1(VALU_DEP_2)
	v_fma_f64 v[8:9], v[10:11], v[2:3], v[8:9]
	v_fma_f64 v[4:5], v[2:3], v[12:13], -v[4:5]
	s_delay_alu instid0(VALU_DEP_2) | instskip(NEXT) | instid1(VALU_DEP_2)
	v_mul_f64 v[2:3], v[8:9], s[0:1]
	v_mul_f64 v[4:5], v[4:5], s[0:1]
	global_store_b128 v[16:17], v[2:5], off
	global_load_b128 v[2:5], v[14:15], off offset:1536
	ds_load_b128 v[6:9], v255 offset:13824
	ds_load_b128 v[10:13], v255 offset:14976
	s_waitcnt vmcnt(0) lgkmcnt(1)
	v_mul_f64 v[18:19], v[8:9], v[4:5]
	v_mul_f64 v[4:5], v[6:7], v[4:5]
	s_delay_alu instid0(VALU_DEP_2) | instskip(NEXT) | instid1(VALU_DEP_2)
	v_fma_f64 v[6:7], v[6:7], v[2:3], v[18:19]
	v_fma_f64 v[4:5], v[2:3], v[8:9], -v[4:5]
	s_delay_alu instid0(VALU_DEP_2) | instskip(NEXT) | instid1(VALU_DEP_2)
	v_mul_f64 v[2:3], v[6:7], s[0:1]
	v_mul_f64 v[4:5], v[4:5], s[0:1]
	v_add_co_u32 v6, vcc_lo, v16, s3
	v_add_co_ci_u32_e32 v7, vcc_lo, s2, v17, vcc_lo
	s_delay_alu instid0(VALU_DEP_2) | instskip(NEXT) | instid1(VALU_DEP_2)
	v_add_co_u32 v16, vcc_lo, v6, s3
	v_add_co_ci_u32_e32 v17, vcc_lo, s2, v7, vcc_lo
	global_store_b128 v[6:7], v[2:5], off
	global_load_b128 v[2:5], v[14:15], off offset:2688
	s_waitcnt vmcnt(0) lgkmcnt(0)
	v_mul_f64 v[8:9], v[12:13], v[4:5]
	v_mul_f64 v[4:5], v[10:11], v[4:5]
	s_delay_alu instid0(VALU_DEP_2) | instskip(NEXT) | instid1(VALU_DEP_2)
	v_fma_f64 v[8:9], v[10:11], v[2:3], v[8:9]
	v_fma_f64 v[4:5], v[2:3], v[12:13], -v[4:5]
	s_delay_alu instid0(VALU_DEP_2) | instskip(NEXT) | instid1(VALU_DEP_2)
	v_mul_f64 v[2:3], v[8:9], s[0:1]
	v_mul_f64 v[4:5], v[4:5], s[0:1]
	global_store_b128 v[16:17], v[2:5], off
	global_load_b128 v[2:5], v[14:15], off offset:3840
	ds_load_b128 v[6:9], v255 offset:16128
	ds_load_b128 v[10:13], v255 offset:17280
	s_waitcnt vmcnt(0) lgkmcnt(1)
	v_mul_f64 v[14:15], v[8:9], v[4:5]
	v_mul_f64 v[4:5], v[6:7], v[4:5]
	s_delay_alu instid0(VALU_DEP_2) | instskip(NEXT) | instid1(VALU_DEP_2)
	v_fma_f64 v[6:7], v[6:7], v[2:3], v[14:15]
	v_fma_f64 v[4:5], v[2:3], v[8:9], -v[4:5]
	s_delay_alu instid0(VALU_DEP_2) | instskip(NEXT) | instid1(VALU_DEP_2)
	v_mul_f64 v[2:3], v[6:7], s[0:1]
	v_mul_f64 v[4:5], v[4:5], s[0:1]
	v_add_co_u32 v6, vcc_lo, v16, s3
	v_add_co_ci_u32_e32 v7, vcc_lo, s2, v17, vcc_lo
	v_add_co_u32 v8, vcc_lo, 0x4000, v20
	v_add_co_ci_u32_e32 v9, vcc_lo, 0, v21, vcc_lo
	global_store_b128 v[6:7], v[2:5], off
	global_load_b128 v[2:5], v[8:9], off offset:896
	v_add_co_u32 v6, vcc_lo, v6, s3
	v_add_co_ci_u32_e32 v7, vcc_lo, s2, v7, vcc_lo
	s_waitcnt vmcnt(0) lgkmcnt(0)
	v_mul_f64 v[8:9], v[12:13], v[4:5]
	v_mul_f64 v[4:5], v[10:11], v[4:5]
	s_delay_alu instid0(VALU_DEP_2) | instskip(NEXT) | instid1(VALU_DEP_2)
	v_fma_f64 v[8:9], v[10:11], v[2:3], v[8:9]
	v_fma_f64 v[4:5], v[2:3], v[12:13], -v[4:5]
	s_delay_alu instid0(VALU_DEP_2) | instskip(NEXT) | instid1(VALU_DEP_2)
	v_mul_f64 v[2:3], v[8:9], s[0:1]
	v_mul_f64 v[4:5], v[4:5], s[0:1]
	v_lshlrev_b32_e32 v8, 4, v247
	global_store_b128 v[6:7], v[2:5], off
	global_load_b128 v[2:5], v8, s[12:13]
	ds_load_b128 v[6:9], v255 offset:18432
	s_waitcnt vmcnt(0) lgkmcnt(0)
	v_mul_f64 v[10:11], v[8:9], v[4:5]
	v_mul_f64 v[4:5], v[6:7], v[4:5]
	s_delay_alu instid0(VALU_DEP_2) | instskip(NEXT) | instid1(VALU_DEP_2)
	v_fma_f64 v[6:7], v[6:7], v[2:3], v[10:11]
	v_fma_f64 v[4:5], v[2:3], v[8:9], -v[4:5]
	v_mad_u64_u32 v[8:9], null, s4, v247, 0
	s_delay_alu instid0(VALU_DEP_3) | instskip(NEXT) | instid1(VALU_DEP_2)
	v_mul_f64 v[2:3], v[6:7], s[0:1]
	v_mov_b32_e32 v6, v9
	s_delay_alu instid0(VALU_DEP_4) | instskip(NEXT) | instid1(VALU_DEP_2)
	v_mul_f64 v[4:5], v[4:5], s[0:1]
	v_mad_u64_u32 v[9:10], null, s5, v247, v[6:7]
	s_delay_alu instid0(VALU_DEP_1) | instskip(NEXT) | instid1(VALU_DEP_1)
	v_lshlrev_b64 v[6:7], 4, v[8:9]
	v_add_co_u32 v0, vcc_lo, v0, v6
	s_delay_alu instid0(VALU_DEP_2)
	v_add_co_ci_u32_e32 v1, vcc_lo, v1, v7, vcc_lo
	global_store_b128 v[0:1], v[2:5], off
.LBB0_15:
	s_nop 0
	s_sendmsg sendmsg(MSG_DEALLOC_VGPRS)
	s_endpgm
	.section	.rodata,"a",@progbits
	.p2align	6, 0x0
	.amdhsa_kernel bluestein_single_back_len1224_dim1_dp_op_CI_CI
		.amdhsa_group_segment_fixed_size 39168
		.amdhsa_private_segment_fixed_size 664
		.amdhsa_kernarg_size 104
		.amdhsa_user_sgpr_count 15
		.amdhsa_user_sgpr_dispatch_ptr 0
		.amdhsa_user_sgpr_queue_ptr 0
		.amdhsa_user_sgpr_kernarg_segment_ptr 1
		.amdhsa_user_sgpr_dispatch_id 0
		.amdhsa_user_sgpr_private_segment_size 0
		.amdhsa_wavefront_size32 1
		.amdhsa_uses_dynamic_stack 0
		.amdhsa_enable_private_segment 1
		.amdhsa_system_sgpr_workgroup_id_x 1
		.amdhsa_system_sgpr_workgroup_id_y 0
		.amdhsa_system_sgpr_workgroup_id_z 0
		.amdhsa_system_sgpr_workgroup_info 0
		.amdhsa_system_vgpr_workitem_id 0
		.amdhsa_next_free_vgpr 256
		.amdhsa_next_free_sgpr 58
		.amdhsa_reserve_vcc 1
		.amdhsa_float_round_mode_32 0
		.amdhsa_float_round_mode_16_64 0
		.amdhsa_float_denorm_mode_32 3
		.amdhsa_float_denorm_mode_16_64 3
		.amdhsa_dx10_clamp 1
		.amdhsa_ieee_mode 1
		.amdhsa_fp16_overflow 0
		.amdhsa_workgroup_processor_mode 1
		.amdhsa_memory_ordered 1
		.amdhsa_forward_progress 0
		.amdhsa_shared_vgpr_count 0
		.amdhsa_exception_fp_ieee_invalid_op 0
		.amdhsa_exception_fp_denorm_src 0
		.amdhsa_exception_fp_ieee_div_zero 0
		.amdhsa_exception_fp_ieee_overflow 0
		.amdhsa_exception_fp_ieee_underflow 0
		.amdhsa_exception_fp_ieee_inexact 0
		.amdhsa_exception_int_div_zero 0
	.end_amdhsa_kernel
	.text
.Lfunc_end0:
	.size	bluestein_single_back_len1224_dim1_dp_op_CI_CI, .Lfunc_end0-bluestein_single_back_len1224_dim1_dp_op_CI_CI
                                        ; -- End function
	.section	.AMDGPU.csdata,"",@progbits
; Kernel info:
; codeLenInByte = 28484
; NumSgprs: 60
; NumVgprs: 256
; ScratchSize: 664
; MemoryBound: 0
; FloatMode: 240
; IeeeMode: 1
; LDSByteSize: 39168 bytes/workgroup (compile time only)
; SGPRBlocks: 7
; VGPRBlocks: 31
; NumSGPRsForWavesPerEU: 60
; NumVGPRsForWavesPerEU: 256
; Occupancy: 5
; WaveLimiterHint : 1
; COMPUTE_PGM_RSRC2:SCRATCH_EN: 1
; COMPUTE_PGM_RSRC2:USER_SGPR: 15
; COMPUTE_PGM_RSRC2:TRAP_HANDLER: 0
; COMPUTE_PGM_RSRC2:TGID_X_EN: 1
; COMPUTE_PGM_RSRC2:TGID_Y_EN: 0
; COMPUTE_PGM_RSRC2:TGID_Z_EN: 0
; COMPUTE_PGM_RSRC2:TIDIG_COMP_CNT: 0
	.text
	.p2alignl 7, 3214868480
	.fill 96, 4, 3214868480
	.type	__hip_cuid_88a1b8565788de41,@object ; @__hip_cuid_88a1b8565788de41
	.section	.bss,"aw",@nobits
	.globl	__hip_cuid_88a1b8565788de41
__hip_cuid_88a1b8565788de41:
	.byte	0                               ; 0x0
	.size	__hip_cuid_88a1b8565788de41, 1

	.ident	"AMD clang version 19.0.0git (https://github.com/RadeonOpenCompute/llvm-project roc-6.4.0 25133 c7fe45cf4b819c5991fe208aaa96edf142730f1d)"
	.section	".note.GNU-stack","",@progbits
	.addrsig
	.addrsig_sym __hip_cuid_88a1b8565788de41
	.amdgpu_metadata
---
amdhsa.kernels:
  - .args:
      - .actual_access:  read_only
        .address_space:  global
        .offset:         0
        .size:           8
        .value_kind:     global_buffer
      - .actual_access:  read_only
        .address_space:  global
        .offset:         8
        .size:           8
        .value_kind:     global_buffer
      - .actual_access:  read_only
        .address_space:  global
        .offset:         16
        .size:           8
        .value_kind:     global_buffer
      - .actual_access:  read_only
        .address_space:  global
        .offset:         24
        .size:           8
        .value_kind:     global_buffer
      - .actual_access:  read_only
        .address_space:  global
        .offset:         32
        .size:           8
        .value_kind:     global_buffer
      - .offset:         40
        .size:           8
        .value_kind:     by_value
      - .address_space:  global
        .offset:         48
        .size:           8
        .value_kind:     global_buffer
      - .address_space:  global
        .offset:         56
        .size:           8
        .value_kind:     global_buffer
      - .address_space:  global
        .offset:         64
        .size:           8
        .value_kind:     global_buffer
      - .address_space:  global
        .offset:         72
        .size:           8
        .value_kind:     global_buffer
      - .offset:         80
        .size:           4
        .value_kind:     by_value
      - .address_space:  global
        .offset:         88
        .size:           8
        .value_kind:     global_buffer
      - .address_space:  global
        .offset:         96
        .size:           8
        .value_kind:     global_buffer
    .group_segment_fixed_size: 39168
    .kernarg_segment_align: 8
    .kernarg_segment_size: 104
    .language:       OpenCL C
    .language_version:
      - 2
      - 0
    .max_flat_workgroup_size: 204
    .name:           bluestein_single_back_len1224_dim1_dp_op_CI_CI
    .private_segment_fixed_size: 664
    .sgpr_count:     60
    .sgpr_spill_count: 0
    .symbol:         bluestein_single_back_len1224_dim1_dp_op_CI_CI.kd
    .uniform_work_group_size: 1
    .uses_dynamic_stack: false
    .vgpr_count:     256
    .vgpr_spill_count: 237
    .wavefront_size: 32
    .workgroup_processor_mode: 1
amdhsa.target:   amdgcn-amd-amdhsa--gfx1100
amdhsa.version:
  - 1
  - 2
...

	.end_amdgpu_metadata
